;; amdgpu-corpus repo=ROCm/composable_kernel kind=compiled arch=gfx90a opt=O3
	.text
	.amdgcn_target "amdgcn-amd-amdhsa--gfx90a"
	.amdhsa_code_object_version 6
	.section	.text._ZN2ckL12flush_icacheEv,"axG",@progbits,_ZN2ckL12flush_icacheEv,comdat
	.globl	_ZN2ckL12flush_icacheEv         ; -- Begin function _ZN2ckL12flush_icacheEv
	.p2align	8
	.type	_ZN2ckL12flush_icacheEv,@function
_ZN2ckL12flush_icacheEv:                ; @_ZN2ckL12flush_icacheEv
; %bb.0:
	;;#ASMSTART
	s_icache_inv 
	s_nop 0 
	s_nop 0 
	;; [unrolled: 1-line block ×16, first 2 shown]
	
	;;#ASMEND
	s_endpgm
	.section	.rodata,"a",@progbits
	.p2align	6, 0x0
	.amdhsa_kernel _ZN2ckL12flush_icacheEv
		.amdhsa_group_segment_fixed_size 0
		.amdhsa_private_segment_fixed_size 0
		.amdhsa_kernarg_size 0
		.amdhsa_user_sgpr_count 4
		.amdhsa_user_sgpr_private_segment_buffer 1
		.amdhsa_user_sgpr_dispatch_ptr 0
		.amdhsa_user_sgpr_queue_ptr 0
		.amdhsa_user_sgpr_kernarg_segment_ptr 0
		.amdhsa_user_sgpr_dispatch_id 0
		.amdhsa_user_sgpr_flat_scratch_init 0
		.amdhsa_user_sgpr_kernarg_preload_length 0
		.amdhsa_user_sgpr_kernarg_preload_offset 0
		.amdhsa_user_sgpr_private_segment_size 0
		.amdhsa_uses_dynamic_stack 0
		.amdhsa_system_sgpr_private_segment_wavefront_offset 0
		.amdhsa_system_sgpr_workgroup_id_x 1
		.amdhsa_system_sgpr_workgroup_id_y 0
		.amdhsa_system_sgpr_workgroup_id_z 0
		.amdhsa_system_sgpr_workgroup_info 0
		.amdhsa_system_vgpr_workitem_id 0
		.amdhsa_next_free_vgpr 1
		.amdhsa_next_free_sgpr 0
		.amdhsa_accum_offset 4
		.amdhsa_reserve_vcc 0
		.amdhsa_reserve_flat_scratch 0
		.amdhsa_float_round_mode_32 0
		.amdhsa_float_round_mode_16_64 0
		.amdhsa_float_denorm_mode_32 3
		.amdhsa_float_denorm_mode_16_64 3
		.amdhsa_dx10_clamp 1
		.amdhsa_ieee_mode 1
		.amdhsa_fp16_overflow 0
		.amdhsa_tg_split 0
		.amdhsa_exception_fp_ieee_invalid_op 0
		.amdhsa_exception_fp_denorm_src 0
		.amdhsa_exception_fp_ieee_div_zero 0
		.amdhsa_exception_fp_ieee_overflow 0
		.amdhsa_exception_fp_ieee_underflow 0
		.amdhsa_exception_fp_ieee_inexact 0
		.amdhsa_exception_int_div_zero 0
	.end_amdhsa_kernel
	.section	.text._ZN2ckL12flush_icacheEv,"axG",@progbits,_ZN2ckL12flush_icacheEv,comdat
.Lfunc_end0:
	.size	_ZN2ckL12flush_icacheEv, .Lfunc_end0-_ZN2ckL12flush_icacheEv
                                        ; -- End function
	.section	.AMDGPU.csdata,"",@progbits
; Kernel info:
; codeLenInByte = 140
; NumSgprs: 4
; NumVgprs: 0
; NumAgprs: 0
; TotalNumVgprs: 0
; ScratchSize: 0
; MemoryBound: 0
; FloatMode: 240
; IeeeMode: 1
; LDSByteSize: 0 bytes/workgroup (compile time only)
; SGPRBlocks: 0
; VGPRBlocks: 0
; NumSGPRsForWavesPerEU: 4
; NumVGPRsForWavesPerEU: 1
; AccumOffset: 4
; Occupancy: 8
; WaveLimiterHint : 0
; COMPUTE_PGM_RSRC2:SCRATCH_EN: 0
; COMPUTE_PGM_RSRC2:USER_SGPR: 4
; COMPUTE_PGM_RSRC2:TRAP_HANDLER: 0
; COMPUTE_PGM_RSRC2:TGID_X_EN: 1
; COMPUTE_PGM_RSRC2:TGID_Y_EN: 0
; COMPUTE_PGM_RSRC2:TGID_Z_EN: 0
; COMPUTE_PGM_RSRC2:TIDIG_COMP_CNT: 0
; COMPUTE_PGM_RSRC3_GFX90A:ACCUM_OFFSET: 0
; COMPUTE_PGM_RSRC3_GFX90A:TG_SPLIT: 0
	.text
	.p2align	2                               ; -- Begin function _ZNK2ck6detail15static_for_implINS_8SequenceIJLi1ELi2ELi3ELi4ELi5ELi6ELi7ELi8ELi9ELi10ELi11ELi12ELi13ELi14ELi15EEEEEclIZNKS_80BlockwiseGemmDl_A_BK0_BM_BK1_B_BK0_BN_BK1_C_BM0_BM1_BN0_BN1_pipeline_BM0_2_BN0_2ILi256EaaiKNS_16TensorDescriptorINS_5TupleIJNS_5EmbedINS8_IJNS_17integral_constantIiLi16EEENSA_IiLi128EEENSA_IiLi4EEEEEENS8_IJNSA_IiLi512EEESD_NSA_IiLi1EEEEEELb0EEEEEENS8_IJNS2_IJLi0EEEEEEENS8_IJNS2_IJLi1ELi2ELi3EEEEEEESM_NSA_IlLl8192EEEEESQ_Li4ELi4ELi1ENS2_IJLi8ELi2EEEESR_Li4ELi4ELb0EE3RunINS7_INS8_IJNS_7UnMergeINS8_IJNSA_IiLi2EEESD_SV_SD_EEELb0EEEEEESL_NS8_IJNS2_IJLi1ELi2ELi3ELi4EEEEEEESZ_NSA_IlLl64EEEEENS_13DynamicBufferILNS_16AddressSpaceEnumE2EaSO_Lb1ELNS_22AmdBufferCoherenceEnumE0EiEES16_NS_12StaticBufferILS14_4EiLi64ELb1EEEEEvRKT_RKT0_RKT1_RT2_EUlS19_E_EEvS19_
	.type	_ZNK2ck6detail15static_for_implINS_8SequenceIJLi1ELi2ELi3ELi4ELi5ELi6ELi7ELi8ELi9ELi10ELi11ELi12ELi13ELi14ELi15EEEEEclIZNKS_80BlockwiseGemmDl_A_BK0_BM_BK1_B_BK0_BN_BK1_C_BM0_BM1_BN0_BN1_pipeline_BM0_2_BN0_2ILi256EaaiKNS_16TensorDescriptorINS_5TupleIJNS_5EmbedINS8_IJNS_17integral_constantIiLi16EEENSA_IiLi128EEENSA_IiLi4EEEEEENS8_IJNSA_IiLi512EEESD_NSA_IiLi1EEEEEELb0EEEEEENS8_IJNS2_IJLi0EEEEEEENS8_IJNS2_IJLi1ELi2ELi3EEEEEEESM_NSA_IlLl8192EEEEESQ_Li4ELi4ELi1ENS2_IJLi8ELi2EEEESR_Li4ELi4ELb0EE3RunINS7_INS8_IJNS_7UnMergeINS8_IJNSA_IiLi2EEESD_SV_SD_EEELb0EEEEEESL_NS8_IJNS2_IJLi1ELi2ELi3ELi4EEEEEEESZ_NSA_IlLl64EEEEENS_13DynamicBufferILNS_16AddressSpaceEnumE2EaSO_Lb1ELNS_22AmdBufferCoherenceEnumE0EiEES16_NS_12StaticBufferILS14_4EiLi64ELb1EEEEEvRKT_RKT0_RKT1_RT2_EUlS19_E_EEvS19_,@function
_ZNK2ck6detail15static_for_implINS_8SequenceIJLi1ELi2ELi3ELi4ELi5ELi6ELi7ELi8ELi9ELi10ELi11ELi12ELi13ELi14ELi15EEEEEclIZNKS_80BlockwiseGemmDl_A_BK0_BM_BK1_B_BK0_BN_BK1_C_BM0_BM1_BN0_BN1_pipeline_BM0_2_BN0_2ILi256EaaiKNS_16TensorDescriptorINS_5TupleIJNS_5EmbedINS8_IJNS_17integral_constantIiLi16EEENSA_IiLi128EEENSA_IiLi4EEEEEENS8_IJNSA_IiLi512EEESD_NSA_IiLi1EEEEEELb0EEEEEENS8_IJNS2_IJLi0EEEEEEENS8_IJNS2_IJLi1ELi2ELi3EEEEEEESM_NSA_IlLl8192EEEEESQ_Li4ELi4ELi1ENS2_IJLi8ELi2EEEESR_Li4ELi4ELb0EE3RunINS7_INS8_IJNS_7UnMergeINS8_IJNSA_IiLi2EEESD_SV_SD_EEELb0EEEEEESL_NS8_IJNS2_IJLi1ELi2ELi3ELi4EEEEEEESZ_NSA_IlLl64EEEEENS_13DynamicBufferILNS_16AddressSpaceEnumE2EaSO_Lb1ELNS_22AmdBufferCoherenceEnumE0EiEES16_NS_12StaticBufferILS14_4EiLi64ELb1EEEEEvRKT_RKT0_RKT1_RT2_EUlS19_E_EEvS19_: ; @_ZNK2ck6detail15static_for_implINS_8SequenceIJLi1ELi2ELi3ELi4ELi5ELi6ELi7ELi8ELi9ELi10ELi11ELi12ELi13ELi14ELi15EEEEEclIZNKS_80BlockwiseGemmDl_A_BK0_BM_BK1_B_BK0_BN_BK1_C_BM0_BM1_BN0_BN1_pipeline_BM0_2_BN0_2ILi256EaaiKNS_16TensorDescriptorINS_5TupleIJNS_5EmbedINS8_IJNS_17integral_constantIiLi16EEENSA_IiLi128EEENSA_IiLi4EEEEEENS8_IJNSA_IiLi512EEESD_NSA_IiLi1EEEEEELb0EEEEEENS8_IJNS2_IJLi0EEEEEEENS8_IJNS2_IJLi1ELi2ELi3EEEEEEESM_NSA_IlLl8192EEEEESQ_Li4ELi4ELi1ENS2_IJLi8ELi2EEEESR_Li4ELi4ELb0EE3RunINS7_INS8_IJNS_7UnMergeINS8_IJNSA_IiLi2EEESD_SV_SD_EEELb0EEEEEESL_NS8_IJNS2_IJLi1ELi2ELi3ELi4EEEEEEESZ_NSA_IlLl64EEEEENS_13DynamicBufferILNS_16AddressSpaceEnumE2EaSO_Lb1ELNS_22AmdBufferCoherenceEnumE0EiEES16_NS_12StaticBufferILS14_4EiLi64ELb1EEEEEvRKT_RKT0_RKT1_RT2_EUlS19_E_EEvS19_
; %bb.0:
	s_waitcnt vmcnt(0) expcnt(0) lgkmcnt(0)
	flat_load_dword v14, v[0:1] offset:16
	flat_load_dwordx2 v[12:13], v[2:3]
	s_movk_i32 s4, 0x1000
	s_waitcnt vmcnt(0) lgkmcnt(0)
	v_ashrrev_i32_e32 v15, 31, v14
	v_add_co_u32_e32 v16, vcc, v12, v14
	v_addc_co_u32_e32 v17, vcc, v13, v15, vcc
	flat_load_dwordx4 v[12:15], v[16:17] offset:512
	flat_load_dword v20, v[4:5] offset:16
	s_waitcnt vmcnt(0) lgkmcnt(0)
	flat_store_dwordx4 v[4:5], v[12:15]
	flat_load_dword v21, v[6:7]
	s_nop 0
	flat_load_dwordx4 v[12:15], v[8:9] offset:128
	flat_load_dwordx4 v[16:19], v[8:9] offset:160
	s_waitcnt vmcnt(0) lgkmcnt(0)
	v_dot4c_i32_i8_e32 v12, v20, v21
	s_nop 2
	flat_store_dword v[8:9], v12 offset:128
	flat_load_dword v12, v[4:5] offset:16
	s_nop 0
	flat_load_dword v20, v[6:7] offset:4
	s_waitcnt vmcnt(0) lgkmcnt(0)
	v_dot4c_i32_i8_e32 v13, v12, v20
	s_nop 2
	flat_store_dword v[8:9], v13 offset:132
	flat_load_dword v12, v[4:5] offset:16
	s_nop 0
	flat_load_dword v13, v[6:7] offset:8
	s_waitcnt vmcnt(0) lgkmcnt(0)
	v_dot4c_i32_i8_e32 v14, v12, v13
	s_nop 2
	flat_store_dword v[8:9], v14 offset:136
	flat_load_dword v12, v[4:5] offset:16
	flat_load_dword v13, v[6:7] offset:12
	s_waitcnt vmcnt(0) lgkmcnt(0)
	v_dot4c_i32_i8_e32 v15, v12, v13
	s_nop 2
	flat_store_dword v[8:9], v15 offset:140
	flat_load_dword v12, v[4:5] offset:20
	flat_load_dword v13, v[6:7]
	s_waitcnt vmcnt(0) lgkmcnt(0)
	v_dot4c_i32_i8_e32 v16, v12, v13
	s_nop 2
	flat_store_dword v[8:9], v16 offset:160
	flat_load_dword v12, v[4:5] offset:20
	flat_load_dword v13, v[6:7] offset:4
	s_waitcnt vmcnt(0) lgkmcnt(0)
	v_dot4c_i32_i8_e32 v17, v12, v13
	s_nop 2
	flat_store_dword v[8:9], v17 offset:164
	flat_load_dword v12, v[4:5] offset:20
	flat_load_dword v13, v[6:7] offset:8
	;; [unrolled: 6-line block ×3, first 2 shown]
	s_waitcnt vmcnt(0) lgkmcnt(0)
	v_dot4c_i32_i8_e32 v19, v12, v13
	s_nop 2
	flat_store_dword v[8:9], v19 offset:172
	flat_load_dword v20, v[4:5] offset:24
	flat_load_dword v21, v[6:7]
	flat_load_dwordx4 v[12:15], v[8:9] offset:192
	s_nop 0
	flat_load_dwordx4 v[16:19], v[8:9] offset:224
	s_waitcnt vmcnt(0) lgkmcnt(0)
	v_dot4c_i32_i8_e32 v12, v20, v21
	s_nop 2
	flat_store_dword v[8:9], v12 offset:192
	flat_load_dword v12, v[4:5] offset:24
	s_nop 0
	flat_load_dword v20, v[6:7] offset:4
	s_waitcnt vmcnt(0) lgkmcnt(0)
	v_dot4c_i32_i8_e32 v13, v12, v20
	s_nop 2
	flat_store_dword v[8:9], v13 offset:196
	flat_load_dword v12, v[4:5] offset:24
	s_nop 0
	flat_load_dword v13, v[6:7] offset:8
	s_waitcnt vmcnt(0) lgkmcnt(0)
	v_dot4c_i32_i8_e32 v14, v12, v13
	s_nop 2
	flat_store_dword v[8:9], v14 offset:200
	flat_load_dword v12, v[4:5] offset:24
	flat_load_dword v13, v[6:7] offset:12
	s_waitcnt vmcnt(0) lgkmcnt(0)
	v_dot4c_i32_i8_e32 v15, v12, v13
	s_nop 2
	flat_store_dword v[8:9], v15 offset:204
	flat_load_dword v12, v[4:5] offset:28
	flat_load_dword v13, v[6:7]
	s_waitcnt vmcnt(0) lgkmcnt(0)
	v_dot4c_i32_i8_e32 v16, v12, v13
	s_nop 2
	flat_store_dword v[8:9], v16 offset:224
	flat_load_dword v12, v[4:5] offset:28
	flat_load_dword v13, v[6:7] offset:4
	s_waitcnt vmcnt(0) lgkmcnt(0)
	v_dot4c_i32_i8_e32 v17, v12, v13
	s_nop 2
	flat_store_dword v[8:9], v17 offset:228
	flat_load_dword v12, v[4:5] offset:28
	flat_load_dword v13, v[6:7] offset:8
	;; [unrolled: 6-line block ×3, first 2 shown]
	s_waitcnt vmcnt(0) lgkmcnt(0)
	v_dot4c_i32_i8_e32 v19, v12, v13
	s_nop 2
	flat_store_dword v[8:9], v19 offset:236
	flat_load_dword v14, v[0:1] offset:48
	flat_load_dwordx2 v[12:13], v[10:11]
	s_waitcnt vmcnt(0) lgkmcnt(0)
	v_ashrrev_i32_e32 v15, 31, v14
	v_add_co_u32_e32 v16, vcc, v12, v14
	v_addc_co_u32_e32 v17, vcc, v13, v15, vcc
	flat_load_dwordx4 v[12:15], v[16:17] offset:512
	flat_load_dword v20, v[6:7] offset:16
	s_waitcnt vmcnt(0) lgkmcnt(0)
	flat_store_dwordx4 v[6:7], v[12:15]
	flat_load_dword v21, v[4:5] offset:16
	s_nop 0
	flat_load_dwordx4 v[12:15], v[8:9] offset:144
	flat_load_dwordx4 v[16:19], v[8:9] offset:176
	s_waitcnt vmcnt(0) lgkmcnt(0)
	v_dot4c_i32_i8_e32 v12, v21, v20
	s_nop 2
	flat_store_dword v[8:9], v12 offset:144
	flat_load_dword v12, v[4:5] offset:16
	s_nop 0
	flat_load_dword v20, v[6:7] offset:20
	s_waitcnt vmcnt(0) lgkmcnt(0)
	v_dot4c_i32_i8_e32 v13, v12, v20
	s_nop 2
	flat_store_dword v[8:9], v13 offset:148
	flat_load_dword v12, v[4:5] offset:16
	s_nop 0
	flat_load_dword v13, v[6:7] offset:24
	s_waitcnt vmcnt(0) lgkmcnt(0)
	v_dot4c_i32_i8_e32 v14, v12, v13
	s_nop 2
	flat_store_dword v[8:9], v14 offset:152
	flat_load_dword v12, v[4:5] offset:16
	flat_load_dword v13, v[6:7] offset:28
	s_waitcnt vmcnt(0) lgkmcnt(0)
	v_dot4c_i32_i8_e32 v15, v12, v13
	s_nop 2
	flat_store_dword v[8:9], v15 offset:156
	flat_load_dword v12, v[4:5] offset:20
	;; [unrolled: 6-line block ×6, first 2 shown]
	flat_load_dword v21, v[6:7] offset:16
	flat_load_dwordx4 v[12:15], v[8:9] offset:208
	s_nop 0
	flat_load_dwordx4 v[16:19], v[8:9] offset:240
	s_waitcnt vmcnt(0) lgkmcnt(0)
	v_dot4c_i32_i8_e32 v12, v20, v21
	s_nop 2
	flat_store_dword v[8:9], v12 offset:208
	flat_load_dword v12, v[4:5] offset:24
	s_nop 0
	flat_load_dword v20, v[6:7] offset:20
	s_waitcnt vmcnt(0) lgkmcnt(0)
	v_dot4c_i32_i8_e32 v13, v12, v20
	s_nop 2
	flat_store_dword v[8:9], v13 offset:212
	flat_load_dword v12, v[4:5] offset:24
	s_nop 0
	flat_load_dword v13, v[6:7] offset:24
	s_waitcnt vmcnt(0) lgkmcnt(0)
	v_dot4c_i32_i8_e32 v14, v12, v13
	s_nop 2
	flat_store_dword v[8:9], v14 offset:216
	flat_load_dword v12, v[4:5] offset:24
	flat_load_dword v13, v[6:7] offset:28
	s_waitcnt vmcnt(0) lgkmcnt(0)
	v_dot4c_i32_i8_e32 v15, v12, v13
	s_nop 2
	flat_store_dword v[8:9], v15 offset:220
	flat_load_dword v12, v[4:5] offset:28
	;; [unrolled: 6-line block ×6, first 2 shown]
	flat_load_dwordx2 v[12:13], v[10:11]
	s_waitcnt vmcnt(0) lgkmcnt(0)
	v_ashrrev_i32_e32 v15, 31, v14
	v_add_co_u32_e32 v12, vcc, v12, v14
	v_addc_co_u32_e32 v13, vcc, v13, v15, vcc
	flat_load_dwordx4 v[12:15], v[12:13] offset:768
	s_waitcnt vmcnt(0) lgkmcnt(0)
	flat_store_dwordx4 v[6:7], v[12:15] offset:16
	flat_load_dword v14, v[0:1] offset:16
	s_nop 0
	flat_load_dwordx2 v[12:13], v[2:3]
	s_waitcnt vmcnt(0) lgkmcnt(0)
	v_ashrrev_i32_e32 v15, 31, v14
	v_add_co_u32_e32 v16, vcc, v12, v14
	v_addc_co_u32_e32 v17, vcc, v13, v15, vcc
	flat_load_dwordx4 v[12:15], v[16:17] offset:768
	flat_load_dword v20, v[4:5]
	s_waitcnt vmcnt(0) lgkmcnt(0)
	flat_store_dwordx4 v[4:5], v[12:15] offset:16
	flat_load_dword v21, v[6:7]
	flat_load_dwordx4 v[16:19], v[8:9]
	s_nop 0
	flat_load_dwordx4 v[12:15], v[8:9] offset:16
	s_waitcnt vmcnt(0) lgkmcnt(0)
	v_dot4c_i32_i8_e32 v16, v20, v21
	s_nop 2
	flat_store_dword v[8:9], v16
	flat_load_dword v16, v[4:5]
	s_nop 0
	flat_load_dword v20, v[6:7] offset:4
	s_waitcnt vmcnt(0) lgkmcnt(0)
	v_dot4c_i32_i8_e32 v17, v16, v20
	s_nop 2
	flat_store_dword v[8:9], v17 offset:4
	flat_load_dword v16, v[4:5]
	s_nop 0
	flat_load_dword v17, v[6:7] offset:8
	s_waitcnt vmcnt(0) lgkmcnt(0)
	v_dot4c_i32_i8_e32 v18, v16, v17
	s_nop 2
	flat_store_dword v[8:9], v18 offset:8
	flat_load_dword v16, v[4:5]
	flat_load_dword v17, v[6:7] offset:12
	s_waitcnt vmcnt(0) lgkmcnt(0)
	v_dot4c_i32_i8_e32 v19, v16, v17
	s_nop 2
	flat_store_dword v[8:9], v19 offset:12
	flat_load_dword v24, v[4:5] offset:4
	flat_load_dword v25, v[6:7]
	s_nop 0
	flat_load_dwordx4 v[16:19], v[8:9] offset:32
	flat_load_dwordx4 v[20:23], v[8:9] offset:48
	s_waitcnt vmcnt(0) lgkmcnt(0)
	v_dot4c_i32_i8_e32 v16, v24, v25
	s_nop 2
	flat_store_dword v[8:9], v16 offset:32
	flat_load_dword v16, v[4:5] offset:4
	s_nop 0
	flat_load_dword v24, v[6:7] offset:4
	s_waitcnt vmcnt(0) lgkmcnt(0)
	v_dot4c_i32_i8_e32 v17, v16, v24
	s_nop 2
	flat_store_dword v[8:9], v17 offset:36
	flat_load_dword v16, v[4:5] offset:4
	s_nop 0
	flat_load_dword v17, v[6:7] offset:8
	s_waitcnt vmcnt(0) lgkmcnt(0)
	v_dot4c_i32_i8_e32 v18, v16, v17
	s_nop 2
	flat_store_dword v[8:9], v18 offset:40
	flat_load_dword v16, v[4:5] offset:4
	flat_load_dword v17, v[6:7] offset:12
	s_waitcnt vmcnt(0) lgkmcnt(0)
	v_dot4c_i32_i8_e32 v19, v16, v17
	s_nop 2
	flat_store_dword v[8:9], v19 offset:44
	flat_load_dword v28, v[4:5] offset:8
	flat_load_dword v29, v[6:7]
	s_nop 0
	flat_load_dwordx4 v[16:19], v[8:9] offset:64
	flat_load_dwordx4 v[24:27], v[8:9] offset:80
	s_waitcnt vmcnt(0) lgkmcnt(0)
	v_dot4c_i32_i8_e32 v16, v28, v29
	s_nop 2
	flat_store_dword v[8:9], v16 offset:64
	flat_load_dword v16, v[4:5] offset:8
	s_nop 0
	flat_load_dword v28, v[6:7] offset:4
	s_waitcnt vmcnt(0) lgkmcnt(0)
	v_dot4c_i32_i8_e32 v17, v16, v28
	s_nop 2
	flat_store_dword v[8:9], v17 offset:68
	flat_load_dword v16, v[4:5] offset:8
	s_nop 0
	flat_load_dword v17, v[6:7] offset:8
	s_waitcnt vmcnt(0) lgkmcnt(0)
	v_dot4c_i32_i8_e32 v18, v16, v17
	s_nop 2
	flat_store_dword v[8:9], v18 offset:72
	flat_load_dword v16, v[4:5] offset:8
	;; [unrolled: 29-line block ×3, first 2 shown]
	flat_load_dword v17, v[6:7] offset:12
	s_waitcnt vmcnt(0) lgkmcnt(0)
	v_dot4c_i32_i8_e32 v19, v16, v17
	s_nop 2
	flat_store_dword v[8:9], v19 offset:108
	flat_load_dword v16, v[4:5]
	flat_load_dword v17, v[6:7] offset:16
	s_waitcnt vmcnt(0) lgkmcnt(0)
	v_dot4c_i32_i8_e32 v12, v16, v17
	s_nop 2
	flat_store_dword v[8:9], v12 offset:16
	flat_load_dword v12, v[4:5]
	s_nop 0
	flat_load_dword v16, v[6:7] offset:20
	s_waitcnt vmcnt(0) lgkmcnt(0)
	v_dot4c_i32_i8_e32 v13, v12, v16
	s_nop 2
	flat_store_dword v[8:9], v13 offset:20
	flat_load_dword v12, v[4:5]
	s_nop 0
	flat_load_dword v13, v[6:7] offset:24
	s_waitcnt vmcnt(0) lgkmcnt(0)
	v_dot4c_i32_i8_e32 v14, v12, v13
	s_nop 2
	flat_store_dword v[8:9], v14 offset:24
	flat_load_dword v12, v[4:5]
	flat_load_dword v13, v[6:7] offset:28
	s_waitcnt vmcnt(0) lgkmcnt(0)
	v_dot4c_i32_i8_e32 v15, v12, v13
	s_nop 2
	flat_store_dword v[8:9], v15 offset:28
	flat_load_dword v12, v[4:5] offset:4
	flat_load_dword v13, v[6:7] offset:16
	s_waitcnt vmcnt(0) lgkmcnt(0)
	v_dot4c_i32_i8_e32 v20, v12, v13
	s_nop 2
	flat_store_dword v[8:9], v20 offset:48
	flat_load_dword v12, v[4:5] offset:4
	;; [unrolled: 6-line block ×13, first 2 shown]
	flat_load_dwordx2 v[12:13], v[2:3]
	s_waitcnt vmcnt(0) lgkmcnt(0)
	v_ashrrev_i32_e32 v15, 31, v14
	v_add_co_u32_e32 v16, vcc, v12, v14
	v_addc_co_u32_e32 v17, vcc, v13, v15, vcc
	flat_load_dwordx4 v[12:15], v[16:17] offset:1024
	flat_load_dword v20, v[4:5] offset:16
	s_waitcnt vmcnt(0) lgkmcnt(0)
	flat_store_dwordx4 v[4:5], v[12:15]
	flat_load_dword v21, v[6:7]
	s_nop 0
	flat_load_dwordx4 v[12:15], v[8:9] offset:128
	flat_load_dwordx4 v[16:19], v[8:9] offset:160
	s_waitcnt vmcnt(0) lgkmcnt(0)
	v_dot4c_i32_i8_e32 v12, v20, v21
	s_nop 2
	flat_store_dword v[8:9], v12 offset:128
	flat_load_dword v12, v[4:5] offset:16
	s_nop 0
	flat_load_dword v20, v[6:7] offset:4
	s_waitcnt vmcnt(0) lgkmcnt(0)
	v_dot4c_i32_i8_e32 v13, v12, v20
	s_nop 2
	flat_store_dword v[8:9], v13 offset:132
	flat_load_dword v12, v[4:5] offset:16
	s_nop 0
	flat_load_dword v13, v[6:7] offset:8
	s_waitcnt vmcnt(0) lgkmcnt(0)
	v_dot4c_i32_i8_e32 v14, v12, v13
	s_nop 2
	flat_store_dword v[8:9], v14 offset:136
	flat_load_dword v12, v[4:5] offset:16
	flat_load_dword v13, v[6:7] offset:12
	s_waitcnt vmcnt(0) lgkmcnt(0)
	v_dot4c_i32_i8_e32 v15, v12, v13
	s_nop 2
	flat_store_dword v[8:9], v15 offset:140
	flat_load_dword v12, v[4:5] offset:20
	flat_load_dword v13, v[6:7]
	s_waitcnt vmcnt(0) lgkmcnt(0)
	v_dot4c_i32_i8_e32 v16, v12, v13
	s_nop 2
	flat_store_dword v[8:9], v16 offset:160
	flat_load_dword v12, v[4:5] offset:20
	flat_load_dword v13, v[6:7] offset:4
	s_waitcnt vmcnt(0) lgkmcnt(0)
	v_dot4c_i32_i8_e32 v17, v12, v13
	s_nop 2
	flat_store_dword v[8:9], v17 offset:164
	flat_load_dword v12, v[4:5] offset:20
	flat_load_dword v13, v[6:7] offset:8
	;; [unrolled: 6-line block ×3, first 2 shown]
	s_waitcnt vmcnt(0) lgkmcnt(0)
	v_dot4c_i32_i8_e32 v19, v12, v13
	s_nop 2
	flat_store_dword v[8:9], v19 offset:172
	flat_load_dword v20, v[4:5] offset:24
	flat_load_dword v21, v[6:7]
	flat_load_dwordx4 v[12:15], v[8:9] offset:192
	s_nop 0
	flat_load_dwordx4 v[16:19], v[8:9] offset:224
	s_waitcnt vmcnt(0) lgkmcnt(0)
	v_dot4c_i32_i8_e32 v12, v20, v21
	s_nop 2
	flat_store_dword v[8:9], v12 offset:192
	flat_load_dword v12, v[4:5] offset:24
	s_nop 0
	flat_load_dword v20, v[6:7] offset:4
	s_waitcnt vmcnt(0) lgkmcnt(0)
	v_dot4c_i32_i8_e32 v13, v12, v20
	s_nop 2
	flat_store_dword v[8:9], v13 offset:196
	flat_load_dword v12, v[4:5] offset:24
	s_nop 0
	flat_load_dword v13, v[6:7] offset:8
	s_waitcnt vmcnt(0) lgkmcnt(0)
	v_dot4c_i32_i8_e32 v14, v12, v13
	s_nop 2
	flat_store_dword v[8:9], v14 offset:200
	flat_load_dword v12, v[4:5] offset:24
	flat_load_dword v13, v[6:7] offset:12
	s_waitcnt vmcnt(0) lgkmcnt(0)
	v_dot4c_i32_i8_e32 v15, v12, v13
	s_nop 2
	flat_store_dword v[8:9], v15 offset:204
	flat_load_dword v12, v[4:5] offset:28
	flat_load_dword v13, v[6:7]
	s_waitcnt vmcnt(0) lgkmcnt(0)
	v_dot4c_i32_i8_e32 v16, v12, v13
	s_nop 2
	flat_store_dword v[8:9], v16 offset:224
	flat_load_dword v12, v[4:5] offset:28
	flat_load_dword v13, v[6:7] offset:4
	s_waitcnt vmcnt(0) lgkmcnt(0)
	v_dot4c_i32_i8_e32 v17, v12, v13
	s_nop 2
	flat_store_dword v[8:9], v17 offset:228
	flat_load_dword v12, v[4:5] offset:28
	flat_load_dword v13, v[6:7] offset:8
	;; [unrolled: 6-line block ×3, first 2 shown]
	s_waitcnt vmcnt(0) lgkmcnt(0)
	v_dot4c_i32_i8_e32 v19, v12, v13
	s_nop 2
	flat_store_dword v[8:9], v19 offset:236
	flat_load_dword v14, v[0:1] offset:48
	flat_load_dwordx2 v[12:13], v[10:11]
	s_waitcnt vmcnt(0) lgkmcnt(0)
	v_ashrrev_i32_e32 v15, 31, v14
	v_add_co_u32_e32 v16, vcc, v12, v14
	v_addc_co_u32_e32 v17, vcc, v13, v15, vcc
	flat_load_dwordx4 v[12:15], v[16:17] offset:1024
	flat_load_dword v20, v[6:7] offset:16
	s_waitcnt vmcnt(0) lgkmcnt(0)
	flat_store_dwordx4 v[6:7], v[12:15]
	flat_load_dword v21, v[4:5] offset:16
	s_nop 0
	flat_load_dwordx4 v[12:15], v[8:9] offset:144
	flat_load_dwordx4 v[16:19], v[8:9] offset:176
	s_waitcnt vmcnt(0) lgkmcnt(0)
	v_dot4c_i32_i8_e32 v12, v21, v20
	s_nop 2
	flat_store_dword v[8:9], v12 offset:144
	flat_load_dword v12, v[4:5] offset:16
	s_nop 0
	flat_load_dword v20, v[6:7] offset:20
	s_waitcnt vmcnt(0) lgkmcnt(0)
	v_dot4c_i32_i8_e32 v13, v12, v20
	s_nop 2
	flat_store_dword v[8:9], v13 offset:148
	flat_load_dword v12, v[4:5] offset:16
	s_nop 0
	flat_load_dword v13, v[6:7] offset:24
	s_waitcnt vmcnt(0) lgkmcnt(0)
	v_dot4c_i32_i8_e32 v14, v12, v13
	s_nop 2
	flat_store_dword v[8:9], v14 offset:152
	flat_load_dword v12, v[4:5] offset:16
	flat_load_dword v13, v[6:7] offset:28
	s_waitcnt vmcnt(0) lgkmcnt(0)
	v_dot4c_i32_i8_e32 v15, v12, v13
	s_nop 2
	flat_store_dword v[8:9], v15 offset:156
	flat_load_dword v12, v[4:5] offset:20
	;; [unrolled: 6-line block ×6, first 2 shown]
	flat_load_dword v21, v[6:7] offset:16
	flat_load_dwordx4 v[12:15], v[8:9] offset:208
	s_nop 0
	flat_load_dwordx4 v[16:19], v[8:9] offset:240
	s_waitcnt vmcnt(0) lgkmcnt(0)
	v_dot4c_i32_i8_e32 v12, v20, v21
	s_nop 2
	flat_store_dword v[8:9], v12 offset:208
	flat_load_dword v12, v[4:5] offset:24
	s_nop 0
	flat_load_dword v20, v[6:7] offset:20
	s_waitcnt vmcnt(0) lgkmcnt(0)
	v_dot4c_i32_i8_e32 v13, v12, v20
	s_nop 2
	flat_store_dword v[8:9], v13 offset:212
	flat_load_dword v12, v[4:5] offset:24
	s_nop 0
	flat_load_dword v13, v[6:7] offset:24
	s_waitcnt vmcnt(0) lgkmcnt(0)
	v_dot4c_i32_i8_e32 v14, v12, v13
	s_nop 2
	flat_store_dword v[8:9], v14 offset:216
	flat_load_dword v12, v[4:5] offset:24
	flat_load_dword v13, v[6:7] offset:28
	s_waitcnt vmcnt(0) lgkmcnt(0)
	v_dot4c_i32_i8_e32 v15, v12, v13
	s_nop 2
	flat_store_dword v[8:9], v15 offset:220
	flat_load_dword v12, v[4:5] offset:28
	;; [unrolled: 6-line block ×6, first 2 shown]
	flat_load_dwordx2 v[12:13], v[10:11]
	s_waitcnt vmcnt(0) lgkmcnt(0)
	v_ashrrev_i32_e32 v15, 31, v14
	v_add_co_u32_e32 v12, vcc, v12, v14
	v_addc_co_u32_e32 v13, vcc, v13, v15, vcc
	flat_load_dwordx4 v[12:15], v[12:13] offset:1280
	s_waitcnt vmcnt(0) lgkmcnt(0)
	flat_store_dwordx4 v[6:7], v[12:15] offset:16
	flat_load_dword v14, v[0:1] offset:16
	s_nop 0
	flat_load_dwordx2 v[12:13], v[2:3]
	s_waitcnt vmcnt(0) lgkmcnt(0)
	v_ashrrev_i32_e32 v15, 31, v14
	v_add_co_u32_e32 v16, vcc, v12, v14
	v_addc_co_u32_e32 v17, vcc, v13, v15, vcc
	flat_load_dwordx4 v[12:15], v[16:17] offset:1280
	flat_load_dword v20, v[4:5]
	s_waitcnt vmcnt(0) lgkmcnt(0)
	flat_store_dwordx4 v[4:5], v[12:15] offset:16
	flat_load_dword v21, v[6:7]
	flat_load_dwordx4 v[16:19], v[8:9]
	s_nop 0
	flat_load_dwordx4 v[12:15], v[8:9] offset:16
	s_waitcnt vmcnt(0) lgkmcnt(0)
	v_dot4c_i32_i8_e32 v16, v20, v21
	s_nop 2
	flat_store_dword v[8:9], v16
	flat_load_dword v16, v[4:5]
	s_nop 0
	flat_load_dword v20, v[6:7] offset:4
	s_waitcnt vmcnt(0) lgkmcnt(0)
	v_dot4c_i32_i8_e32 v17, v16, v20
	s_nop 2
	flat_store_dword v[8:9], v17 offset:4
	flat_load_dword v16, v[4:5]
	s_nop 0
	flat_load_dword v17, v[6:7] offset:8
	s_waitcnt vmcnt(0) lgkmcnt(0)
	v_dot4c_i32_i8_e32 v18, v16, v17
	s_nop 2
	flat_store_dword v[8:9], v18 offset:8
	flat_load_dword v16, v[4:5]
	flat_load_dword v17, v[6:7] offset:12
	s_waitcnt vmcnt(0) lgkmcnt(0)
	v_dot4c_i32_i8_e32 v19, v16, v17
	s_nop 2
	flat_store_dword v[8:9], v19 offset:12
	flat_load_dword v24, v[4:5] offset:4
	flat_load_dword v25, v[6:7]
	s_nop 0
	flat_load_dwordx4 v[16:19], v[8:9] offset:32
	flat_load_dwordx4 v[20:23], v[8:9] offset:48
	s_waitcnt vmcnt(0) lgkmcnt(0)
	v_dot4c_i32_i8_e32 v16, v24, v25
	s_nop 2
	flat_store_dword v[8:9], v16 offset:32
	flat_load_dword v16, v[4:5] offset:4
	s_nop 0
	flat_load_dword v24, v[6:7] offset:4
	s_waitcnt vmcnt(0) lgkmcnt(0)
	v_dot4c_i32_i8_e32 v17, v16, v24
	s_nop 2
	flat_store_dword v[8:9], v17 offset:36
	flat_load_dword v16, v[4:5] offset:4
	s_nop 0
	flat_load_dword v17, v[6:7] offset:8
	s_waitcnt vmcnt(0) lgkmcnt(0)
	v_dot4c_i32_i8_e32 v18, v16, v17
	s_nop 2
	flat_store_dword v[8:9], v18 offset:40
	flat_load_dword v16, v[4:5] offset:4
	flat_load_dword v17, v[6:7] offset:12
	s_waitcnt vmcnt(0) lgkmcnt(0)
	v_dot4c_i32_i8_e32 v19, v16, v17
	s_nop 2
	flat_store_dword v[8:9], v19 offset:44
	flat_load_dword v28, v[4:5] offset:8
	flat_load_dword v29, v[6:7]
	s_nop 0
	flat_load_dwordx4 v[16:19], v[8:9] offset:64
	flat_load_dwordx4 v[24:27], v[8:9] offset:80
	s_waitcnt vmcnt(0) lgkmcnt(0)
	v_dot4c_i32_i8_e32 v16, v28, v29
	s_nop 2
	flat_store_dword v[8:9], v16 offset:64
	flat_load_dword v16, v[4:5] offset:8
	s_nop 0
	flat_load_dword v28, v[6:7] offset:4
	s_waitcnt vmcnt(0) lgkmcnt(0)
	v_dot4c_i32_i8_e32 v17, v16, v28
	s_nop 2
	flat_store_dword v[8:9], v17 offset:68
	flat_load_dword v16, v[4:5] offset:8
	s_nop 0
	flat_load_dword v17, v[6:7] offset:8
	s_waitcnt vmcnt(0) lgkmcnt(0)
	v_dot4c_i32_i8_e32 v18, v16, v17
	s_nop 2
	flat_store_dword v[8:9], v18 offset:72
	flat_load_dword v16, v[4:5] offset:8
	;; [unrolled: 29-line block ×3, first 2 shown]
	flat_load_dword v17, v[6:7] offset:12
	s_waitcnt vmcnt(0) lgkmcnt(0)
	v_dot4c_i32_i8_e32 v19, v16, v17
	s_nop 2
	flat_store_dword v[8:9], v19 offset:108
	flat_load_dword v16, v[4:5]
	flat_load_dword v17, v[6:7] offset:16
	s_waitcnt vmcnt(0) lgkmcnt(0)
	v_dot4c_i32_i8_e32 v12, v16, v17
	s_nop 2
	flat_store_dword v[8:9], v12 offset:16
	flat_load_dword v12, v[4:5]
	s_nop 0
	flat_load_dword v16, v[6:7] offset:20
	s_waitcnt vmcnt(0) lgkmcnt(0)
	v_dot4c_i32_i8_e32 v13, v12, v16
	s_nop 2
	flat_store_dword v[8:9], v13 offset:20
	flat_load_dword v12, v[4:5]
	s_nop 0
	flat_load_dword v13, v[6:7] offset:24
	s_waitcnt vmcnt(0) lgkmcnt(0)
	v_dot4c_i32_i8_e32 v14, v12, v13
	s_nop 2
	flat_store_dword v[8:9], v14 offset:24
	flat_load_dword v12, v[4:5]
	flat_load_dword v13, v[6:7] offset:28
	s_waitcnt vmcnt(0) lgkmcnt(0)
	v_dot4c_i32_i8_e32 v15, v12, v13
	s_nop 2
	flat_store_dword v[8:9], v15 offset:28
	flat_load_dword v12, v[4:5] offset:4
	flat_load_dword v13, v[6:7] offset:16
	s_waitcnt vmcnt(0) lgkmcnt(0)
	v_dot4c_i32_i8_e32 v20, v12, v13
	s_nop 2
	flat_store_dword v[8:9], v20 offset:48
	flat_load_dword v12, v[4:5] offset:4
	;; [unrolled: 6-line block ×13, first 2 shown]
	flat_load_dwordx2 v[12:13], v[2:3]
	s_waitcnt vmcnt(0) lgkmcnt(0)
	v_ashrrev_i32_e32 v15, 31, v14
	v_add_co_u32_e32 v16, vcc, v12, v14
	v_addc_co_u32_e32 v17, vcc, v13, v15, vcc
	flat_load_dwordx4 v[12:15], v[16:17] offset:1536
	flat_load_dword v20, v[4:5] offset:16
	s_waitcnt vmcnt(0) lgkmcnt(0)
	flat_store_dwordx4 v[4:5], v[12:15]
	flat_load_dword v21, v[6:7]
	s_nop 0
	flat_load_dwordx4 v[12:15], v[8:9] offset:128
	flat_load_dwordx4 v[16:19], v[8:9] offset:160
	s_waitcnt vmcnt(0) lgkmcnt(0)
	v_dot4c_i32_i8_e32 v12, v20, v21
	s_nop 2
	flat_store_dword v[8:9], v12 offset:128
	flat_load_dword v12, v[4:5] offset:16
	s_nop 0
	flat_load_dword v20, v[6:7] offset:4
	s_waitcnt vmcnt(0) lgkmcnt(0)
	v_dot4c_i32_i8_e32 v13, v12, v20
	s_nop 2
	flat_store_dword v[8:9], v13 offset:132
	flat_load_dword v12, v[4:5] offset:16
	s_nop 0
	flat_load_dword v13, v[6:7] offset:8
	s_waitcnt vmcnt(0) lgkmcnt(0)
	v_dot4c_i32_i8_e32 v14, v12, v13
	s_nop 2
	flat_store_dword v[8:9], v14 offset:136
	flat_load_dword v12, v[4:5] offset:16
	flat_load_dword v13, v[6:7] offset:12
	s_waitcnt vmcnt(0) lgkmcnt(0)
	v_dot4c_i32_i8_e32 v15, v12, v13
	s_nop 2
	flat_store_dword v[8:9], v15 offset:140
	flat_load_dword v12, v[4:5] offset:20
	flat_load_dword v13, v[6:7]
	s_waitcnt vmcnt(0) lgkmcnt(0)
	v_dot4c_i32_i8_e32 v16, v12, v13
	s_nop 2
	flat_store_dword v[8:9], v16 offset:160
	flat_load_dword v12, v[4:5] offset:20
	flat_load_dword v13, v[6:7] offset:4
	s_waitcnt vmcnt(0) lgkmcnt(0)
	v_dot4c_i32_i8_e32 v17, v12, v13
	s_nop 2
	flat_store_dword v[8:9], v17 offset:164
	flat_load_dword v12, v[4:5] offset:20
	flat_load_dword v13, v[6:7] offset:8
	;; [unrolled: 6-line block ×3, first 2 shown]
	s_waitcnt vmcnt(0) lgkmcnt(0)
	v_dot4c_i32_i8_e32 v19, v12, v13
	s_nop 2
	flat_store_dword v[8:9], v19 offset:172
	flat_load_dword v20, v[4:5] offset:24
	flat_load_dword v21, v[6:7]
	flat_load_dwordx4 v[12:15], v[8:9] offset:192
	s_nop 0
	flat_load_dwordx4 v[16:19], v[8:9] offset:224
	s_waitcnt vmcnt(0) lgkmcnt(0)
	v_dot4c_i32_i8_e32 v12, v20, v21
	s_nop 2
	flat_store_dword v[8:9], v12 offset:192
	flat_load_dword v12, v[4:5] offset:24
	s_nop 0
	flat_load_dword v20, v[6:7] offset:4
	s_waitcnt vmcnt(0) lgkmcnt(0)
	v_dot4c_i32_i8_e32 v13, v12, v20
	s_nop 2
	flat_store_dword v[8:9], v13 offset:196
	flat_load_dword v12, v[4:5] offset:24
	s_nop 0
	flat_load_dword v13, v[6:7] offset:8
	s_waitcnt vmcnt(0) lgkmcnt(0)
	v_dot4c_i32_i8_e32 v14, v12, v13
	s_nop 2
	flat_store_dword v[8:9], v14 offset:200
	flat_load_dword v12, v[4:5] offset:24
	flat_load_dword v13, v[6:7] offset:12
	s_waitcnt vmcnt(0) lgkmcnt(0)
	v_dot4c_i32_i8_e32 v15, v12, v13
	s_nop 2
	flat_store_dword v[8:9], v15 offset:204
	flat_load_dword v12, v[4:5] offset:28
	flat_load_dword v13, v[6:7]
	s_waitcnt vmcnt(0) lgkmcnt(0)
	v_dot4c_i32_i8_e32 v16, v12, v13
	s_nop 2
	flat_store_dword v[8:9], v16 offset:224
	flat_load_dword v12, v[4:5] offset:28
	flat_load_dword v13, v[6:7] offset:4
	s_waitcnt vmcnt(0) lgkmcnt(0)
	v_dot4c_i32_i8_e32 v17, v12, v13
	s_nop 2
	flat_store_dword v[8:9], v17 offset:228
	flat_load_dword v12, v[4:5] offset:28
	flat_load_dword v13, v[6:7] offset:8
	;; [unrolled: 6-line block ×3, first 2 shown]
	s_waitcnt vmcnt(0) lgkmcnt(0)
	v_dot4c_i32_i8_e32 v19, v12, v13
	s_nop 2
	flat_store_dword v[8:9], v19 offset:236
	flat_load_dword v14, v[0:1] offset:48
	flat_load_dwordx2 v[12:13], v[10:11]
	s_waitcnt vmcnt(0) lgkmcnt(0)
	v_ashrrev_i32_e32 v15, 31, v14
	v_add_co_u32_e32 v16, vcc, v12, v14
	v_addc_co_u32_e32 v17, vcc, v13, v15, vcc
	flat_load_dwordx4 v[12:15], v[16:17] offset:1536
	flat_load_dword v20, v[6:7] offset:16
	s_waitcnt vmcnt(0) lgkmcnt(0)
	flat_store_dwordx4 v[6:7], v[12:15]
	flat_load_dword v21, v[4:5] offset:16
	s_nop 0
	flat_load_dwordx4 v[12:15], v[8:9] offset:144
	flat_load_dwordx4 v[16:19], v[8:9] offset:176
	s_waitcnt vmcnt(0) lgkmcnt(0)
	v_dot4c_i32_i8_e32 v12, v21, v20
	s_nop 2
	flat_store_dword v[8:9], v12 offset:144
	flat_load_dword v12, v[4:5] offset:16
	s_nop 0
	flat_load_dword v20, v[6:7] offset:20
	s_waitcnt vmcnt(0) lgkmcnt(0)
	v_dot4c_i32_i8_e32 v13, v12, v20
	s_nop 2
	flat_store_dword v[8:9], v13 offset:148
	flat_load_dword v12, v[4:5] offset:16
	s_nop 0
	flat_load_dword v13, v[6:7] offset:24
	s_waitcnt vmcnt(0) lgkmcnt(0)
	v_dot4c_i32_i8_e32 v14, v12, v13
	s_nop 2
	flat_store_dword v[8:9], v14 offset:152
	flat_load_dword v12, v[4:5] offset:16
	flat_load_dword v13, v[6:7] offset:28
	s_waitcnt vmcnt(0) lgkmcnt(0)
	v_dot4c_i32_i8_e32 v15, v12, v13
	s_nop 2
	flat_store_dword v[8:9], v15 offset:156
	flat_load_dword v12, v[4:5] offset:20
	;; [unrolled: 6-line block ×6, first 2 shown]
	flat_load_dword v21, v[6:7] offset:16
	flat_load_dwordx4 v[12:15], v[8:9] offset:208
	s_nop 0
	flat_load_dwordx4 v[16:19], v[8:9] offset:240
	s_waitcnt vmcnt(0) lgkmcnt(0)
	v_dot4c_i32_i8_e32 v12, v20, v21
	s_nop 2
	flat_store_dword v[8:9], v12 offset:208
	flat_load_dword v12, v[4:5] offset:24
	s_nop 0
	flat_load_dword v20, v[6:7] offset:20
	s_waitcnt vmcnt(0) lgkmcnt(0)
	v_dot4c_i32_i8_e32 v13, v12, v20
	s_nop 2
	flat_store_dword v[8:9], v13 offset:212
	flat_load_dword v12, v[4:5] offset:24
	s_nop 0
	flat_load_dword v13, v[6:7] offset:24
	s_waitcnt vmcnt(0) lgkmcnt(0)
	v_dot4c_i32_i8_e32 v14, v12, v13
	s_nop 2
	flat_store_dword v[8:9], v14 offset:216
	flat_load_dword v12, v[4:5] offset:24
	flat_load_dword v13, v[6:7] offset:28
	s_waitcnt vmcnt(0) lgkmcnt(0)
	v_dot4c_i32_i8_e32 v15, v12, v13
	s_nop 2
	flat_store_dword v[8:9], v15 offset:220
	flat_load_dword v12, v[4:5] offset:28
	;; [unrolled: 6-line block ×6, first 2 shown]
	flat_load_dwordx2 v[12:13], v[10:11]
	s_waitcnt vmcnt(0) lgkmcnt(0)
	v_ashrrev_i32_e32 v15, 31, v14
	v_add_co_u32_e32 v12, vcc, v12, v14
	v_addc_co_u32_e32 v13, vcc, v13, v15, vcc
	flat_load_dwordx4 v[12:15], v[12:13] offset:1792
	s_waitcnt vmcnt(0) lgkmcnt(0)
	flat_store_dwordx4 v[6:7], v[12:15] offset:16
	flat_load_dword v14, v[0:1] offset:16
	s_nop 0
	flat_load_dwordx2 v[12:13], v[2:3]
	s_waitcnt vmcnt(0) lgkmcnt(0)
	v_ashrrev_i32_e32 v15, 31, v14
	v_add_co_u32_e32 v16, vcc, v12, v14
	v_addc_co_u32_e32 v17, vcc, v13, v15, vcc
	flat_load_dwordx4 v[12:15], v[16:17] offset:1792
	flat_load_dword v20, v[4:5]
	s_waitcnt vmcnt(0) lgkmcnt(0)
	flat_store_dwordx4 v[4:5], v[12:15] offset:16
	flat_load_dword v21, v[6:7]
	flat_load_dwordx4 v[16:19], v[8:9]
	s_nop 0
	flat_load_dwordx4 v[12:15], v[8:9] offset:16
	s_waitcnt vmcnt(0) lgkmcnt(0)
	v_dot4c_i32_i8_e32 v16, v20, v21
	s_nop 2
	flat_store_dword v[8:9], v16
	flat_load_dword v16, v[4:5]
	s_nop 0
	flat_load_dword v20, v[6:7] offset:4
	s_waitcnt vmcnt(0) lgkmcnt(0)
	v_dot4c_i32_i8_e32 v17, v16, v20
	s_nop 2
	flat_store_dword v[8:9], v17 offset:4
	flat_load_dword v16, v[4:5]
	s_nop 0
	flat_load_dword v17, v[6:7] offset:8
	s_waitcnt vmcnt(0) lgkmcnt(0)
	v_dot4c_i32_i8_e32 v18, v16, v17
	s_nop 2
	flat_store_dword v[8:9], v18 offset:8
	flat_load_dword v16, v[4:5]
	flat_load_dword v17, v[6:7] offset:12
	s_waitcnt vmcnt(0) lgkmcnt(0)
	v_dot4c_i32_i8_e32 v19, v16, v17
	s_nop 2
	flat_store_dword v[8:9], v19 offset:12
	flat_load_dword v24, v[4:5] offset:4
	flat_load_dword v25, v[6:7]
	s_nop 0
	flat_load_dwordx4 v[16:19], v[8:9] offset:32
	flat_load_dwordx4 v[20:23], v[8:9] offset:48
	s_waitcnt vmcnt(0) lgkmcnt(0)
	v_dot4c_i32_i8_e32 v16, v24, v25
	s_nop 2
	flat_store_dword v[8:9], v16 offset:32
	flat_load_dword v16, v[4:5] offset:4
	s_nop 0
	flat_load_dword v24, v[6:7] offset:4
	s_waitcnt vmcnt(0) lgkmcnt(0)
	v_dot4c_i32_i8_e32 v17, v16, v24
	s_nop 2
	flat_store_dword v[8:9], v17 offset:36
	flat_load_dword v16, v[4:5] offset:4
	s_nop 0
	flat_load_dword v17, v[6:7] offset:8
	s_waitcnt vmcnt(0) lgkmcnt(0)
	v_dot4c_i32_i8_e32 v18, v16, v17
	s_nop 2
	flat_store_dword v[8:9], v18 offset:40
	flat_load_dword v16, v[4:5] offset:4
	flat_load_dword v17, v[6:7] offset:12
	s_waitcnt vmcnt(0) lgkmcnt(0)
	v_dot4c_i32_i8_e32 v19, v16, v17
	s_nop 2
	flat_store_dword v[8:9], v19 offset:44
	flat_load_dword v28, v[4:5] offset:8
	flat_load_dword v29, v[6:7]
	s_nop 0
	flat_load_dwordx4 v[16:19], v[8:9] offset:64
	flat_load_dwordx4 v[24:27], v[8:9] offset:80
	s_waitcnt vmcnt(0) lgkmcnt(0)
	v_dot4c_i32_i8_e32 v16, v28, v29
	s_nop 2
	flat_store_dword v[8:9], v16 offset:64
	flat_load_dword v16, v[4:5] offset:8
	s_nop 0
	flat_load_dword v28, v[6:7] offset:4
	s_waitcnt vmcnt(0) lgkmcnt(0)
	v_dot4c_i32_i8_e32 v17, v16, v28
	s_nop 2
	flat_store_dword v[8:9], v17 offset:68
	flat_load_dword v16, v[4:5] offset:8
	s_nop 0
	flat_load_dword v17, v[6:7] offset:8
	s_waitcnt vmcnt(0) lgkmcnt(0)
	v_dot4c_i32_i8_e32 v18, v16, v17
	s_nop 2
	flat_store_dword v[8:9], v18 offset:72
	flat_load_dword v16, v[4:5] offset:8
	flat_load_dword v17, v[6:7] offset:12
	s_waitcnt vmcnt(0) lgkmcnt(0)
	v_dot4c_i32_i8_e32 v19, v16, v17
	s_nop 2
	flat_store_dword v[8:9], v19 offset:76
	flat_load_dword v32, v[4:5] offset:12
	flat_load_dword v33, v[6:7]
	s_nop 0
	flat_load_dwordx4 v[16:19], v[8:9] offset:96
	flat_load_dwordx4 v[28:31], v[8:9] offset:112
	s_waitcnt vmcnt(0) lgkmcnt(0)
	v_dot4c_i32_i8_e32 v16, v32, v33
	s_nop 2
	flat_store_dword v[8:9], v16 offset:96
	flat_load_dword v16, v[4:5] offset:12
	s_nop 0
	flat_load_dword v32, v[6:7] offset:4
	s_waitcnt vmcnt(0) lgkmcnt(0)
	v_dot4c_i32_i8_e32 v17, v16, v32
	s_nop 2
	flat_store_dword v[8:9], v17 offset:100
	flat_load_dword v16, v[4:5] offset:12
	s_nop 0
	flat_load_dword v17, v[6:7] offset:8
	s_waitcnt vmcnt(0) lgkmcnt(0)
	v_dot4c_i32_i8_e32 v18, v16, v17
	s_nop 2
	flat_store_dword v[8:9], v18 offset:104
	flat_load_dword v16, v[4:5] offset:12
	flat_load_dword v17, v[6:7] offset:12
	s_waitcnt vmcnt(0) lgkmcnt(0)
	v_dot4c_i32_i8_e32 v19, v16, v17
	s_nop 2
	flat_store_dword v[8:9], v19 offset:108
	flat_load_dword v16, v[4:5]
	flat_load_dword v17, v[6:7] offset:16
	s_waitcnt vmcnt(0) lgkmcnt(0)
	v_dot4c_i32_i8_e32 v12, v16, v17
	s_nop 2
	flat_store_dword v[8:9], v12 offset:16
	flat_load_dword v12, v[4:5]
	s_nop 0
	flat_load_dword v16, v[6:7] offset:20
	s_waitcnt vmcnt(0) lgkmcnt(0)
	v_dot4c_i32_i8_e32 v13, v12, v16
	s_nop 2
	flat_store_dword v[8:9], v13 offset:20
	flat_load_dword v12, v[4:5]
	s_nop 0
	flat_load_dword v13, v[6:7] offset:24
	s_waitcnt vmcnt(0) lgkmcnt(0)
	v_dot4c_i32_i8_e32 v14, v12, v13
	s_nop 2
	flat_store_dword v[8:9], v14 offset:24
	flat_load_dword v12, v[4:5]
	flat_load_dword v13, v[6:7] offset:28
	s_waitcnt vmcnt(0) lgkmcnt(0)
	v_dot4c_i32_i8_e32 v15, v12, v13
	s_nop 2
	flat_store_dword v[8:9], v15 offset:28
	flat_load_dword v12, v[4:5] offset:4
	flat_load_dword v13, v[6:7] offset:16
	s_waitcnt vmcnt(0) lgkmcnt(0)
	v_dot4c_i32_i8_e32 v20, v12, v13
	s_nop 2
	flat_store_dword v[8:9], v20 offset:48
	flat_load_dword v12, v[4:5] offset:4
	;; [unrolled: 6-line block ×13, first 2 shown]
	flat_load_dwordx2 v[12:13], v[2:3]
	s_waitcnt vmcnt(0) lgkmcnt(0)
	v_ashrrev_i32_e32 v15, 31, v14
	v_add_co_u32_e32 v16, vcc, v12, v14
	v_addc_co_u32_e32 v17, vcc, v13, v15, vcc
	flat_load_dwordx4 v[12:15], v[16:17] offset:2048
	flat_load_dword v20, v[4:5] offset:16
	s_waitcnt vmcnt(0) lgkmcnt(0)
	flat_store_dwordx4 v[4:5], v[12:15]
	flat_load_dword v21, v[6:7]
	s_nop 0
	flat_load_dwordx4 v[12:15], v[8:9] offset:128
	flat_load_dwordx4 v[16:19], v[8:9] offset:160
	s_waitcnt vmcnt(0) lgkmcnt(0)
	v_dot4c_i32_i8_e32 v12, v20, v21
	s_nop 2
	flat_store_dword v[8:9], v12 offset:128
	flat_load_dword v12, v[4:5] offset:16
	s_nop 0
	flat_load_dword v20, v[6:7] offset:4
	s_waitcnt vmcnt(0) lgkmcnt(0)
	v_dot4c_i32_i8_e32 v13, v12, v20
	s_nop 2
	flat_store_dword v[8:9], v13 offset:132
	flat_load_dword v12, v[4:5] offset:16
	s_nop 0
	flat_load_dword v13, v[6:7] offset:8
	s_waitcnt vmcnt(0) lgkmcnt(0)
	v_dot4c_i32_i8_e32 v14, v12, v13
	s_nop 2
	flat_store_dword v[8:9], v14 offset:136
	flat_load_dword v12, v[4:5] offset:16
	flat_load_dword v13, v[6:7] offset:12
	s_waitcnt vmcnt(0) lgkmcnt(0)
	v_dot4c_i32_i8_e32 v15, v12, v13
	s_nop 2
	flat_store_dword v[8:9], v15 offset:140
	flat_load_dword v12, v[4:5] offset:20
	flat_load_dword v13, v[6:7]
	s_waitcnt vmcnt(0) lgkmcnt(0)
	v_dot4c_i32_i8_e32 v16, v12, v13
	s_nop 2
	flat_store_dword v[8:9], v16 offset:160
	flat_load_dword v12, v[4:5] offset:20
	flat_load_dword v13, v[6:7] offset:4
	s_waitcnt vmcnt(0) lgkmcnt(0)
	v_dot4c_i32_i8_e32 v17, v12, v13
	s_nop 2
	flat_store_dword v[8:9], v17 offset:164
	flat_load_dword v12, v[4:5] offset:20
	flat_load_dword v13, v[6:7] offset:8
	;; [unrolled: 6-line block ×3, first 2 shown]
	s_waitcnt vmcnt(0) lgkmcnt(0)
	v_dot4c_i32_i8_e32 v19, v12, v13
	s_nop 2
	flat_store_dword v[8:9], v19 offset:172
	flat_load_dword v20, v[4:5] offset:24
	flat_load_dword v21, v[6:7]
	flat_load_dwordx4 v[12:15], v[8:9] offset:192
	s_nop 0
	flat_load_dwordx4 v[16:19], v[8:9] offset:224
	s_waitcnt vmcnt(0) lgkmcnt(0)
	v_dot4c_i32_i8_e32 v12, v20, v21
	s_nop 2
	flat_store_dword v[8:9], v12 offset:192
	flat_load_dword v12, v[4:5] offset:24
	s_nop 0
	flat_load_dword v20, v[6:7] offset:4
	s_waitcnt vmcnt(0) lgkmcnt(0)
	v_dot4c_i32_i8_e32 v13, v12, v20
	s_nop 2
	flat_store_dword v[8:9], v13 offset:196
	flat_load_dword v12, v[4:5] offset:24
	s_nop 0
	flat_load_dword v13, v[6:7] offset:8
	s_waitcnt vmcnt(0) lgkmcnt(0)
	v_dot4c_i32_i8_e32 v14, v12, v13
	s_nop 2
	flat_store_dword v[8:9], v14 offset:200
	flat_load_dword v12, v[4:5] offset:24
	flat_load_dword v13, v[6:7] offset:12
	s_waitcnt vmcnt(0) lgkmcnt(0)
	v_dot4c_i32_i8_e32 v15, v12, v13
	s_nop 2
	flat_store_dword v[8:9], v15 offset:204
	flat_load_dword v12, v[4:5] offset:28
	flat_load_dword v13, v[6:7]
	s_waitcnt vmcnt(0) lgkmcnt(0)
	v_dot4c_i32_i8_e32 v16, v12, v13
	s_nop 2
	flat_store_dword v[8:9], v16 offset:224
	flat_load_dword v12, v[4:5] offset:28
	flat_load_dword v13, v[6:7] offset:4
	s_waitcnt vmcnt(0) lgkmcnt(0)
	v_dot4c_i32_i8_e32 v17, v12, v13
	s_nop 2
	flat_store_dword v[8:9], v17 offset:228
	flat_load_dword v12, v[4:5] offset:28
	flat_load_dword v13, v[6:7] offset:8
	;; [unrolled: 6-line block ×3, first 2 shown]
	s_waitcnt vmcnt(0) lgkmcnt(0)
	v_dot4c_i32_i8_e32 v19, v12, v13
	s_nop 2
	flat_store_dword v[8:9], v19 offset:236
	flat_load_dword v14, v[0:1] offset:48
	flat_load_dwordx2 v[12:13], v[10:11]
	s_waitcnt vmcnt(0) lgkmcnt(0)
	v_ashrrev_i32_e32 v15, 31, v14
	v_add_co_u32_e32 v16, vcc, v12, v14
	v_addc_co_u32_e32 v17, vcc, v13, v15, vcc
	flat_load_dwordx4 v[12:15], v[16:17] offset:2048
	flat_load_dword v20, v[6:7] offset:16
	s_waitcnt vmcnt(0) lgkmcnt(0)
	flat_store_dwordx4 v[6:7], v[12:15]
	flat_load_dword v21, v[4:5] offset:16
	s_nop 0
	flat_load_dwordx4 v[12:15], v[8:9] offset:144
	flat_load_dwordx4 v[16:19], v[8:9] offset:176
	s_waitcnt vmcnt(0) lgkmcnt(0)
	v_dot4c_i32_i8_e32 v12, v21, v20
	s_nop 2
	flat_store_dword v[8:9], v12 offset:144
	flat_load_dword v12, v[4:5] offset:16
	s_nop 0
	flat_load_dword v20, v[6:7] offset:20
	s_waitcnt vmcnt(0) lgkmcnt(0)
	v_dot4c_i32_i8_e32 v13, v12, v20
	s_nop 2
	flat_store_dword v[8:9], v13 offset:148
	flat_load_dword v12, v[4:5] offset:16
	s_nop 0
	flat_load_dword v13, v[6:7] offset:24
	s_waitcnt vmcnt(0) lgkmcnt(0)
	v_dot4c_i32_i8_e32 v14, v12, v13
	s_nop 2
	flat_store_dword v[8:9], v14 offset:152
	flat_load_dword v12, v[4:5] offset:16
	flat_load_dword v13, v[6:7] offset:28
	s_waitcnt vmcnt(0) lgkmcnt(0)
	v_dot4c_i32_i8_e32 v15, v12, v13
	s_nop 2
	flat_store_dword v[8:9], v15 offset:156
	flat_load_dword v12, v[4:5] offset:20
	flat_load_dword v13, v[6:7] offset:16
	s_waitcnt vmcnt(0) lgkmcnt(0)
	v_dot4c_i32_i8_e32 v16, v12, v13
	s_nop 2
	flat_store_dword v[8:9], v16 offset:176
	flat_load_dword v12, v[4:5] offset:20
	flat_load_dword v13, v[6:7] offset:20
	s_waitcnt vmcnt(0) lgkmcnt(0)
	v_dot4c_i32_i8_e32 v17, v12, v13
	s_nop 2
	flat_store_dword v[8:9], v17 offset:180
	flat_load_dword v12, v[4:5] offset:20
	flat_load_dword v13, v[6:7] offset:24
	s_waitcnt vmcnt(0) lgkmcnt(0)
	v_dot4c_i32_i8_e32 v18, v12, v13
	s_nop 2
	flat_store_dword v[8:9], v18 offset:184
	flat_load_dword v12, v[4:5] offset:20
	flat_load_dword v13, v[6:7] offset:28
	s_waitcnt vmcnt(0) lgkmcnt(0)
	v_dot4c_i32_i8_e32 v19, v12, v13
	s_nop 2
	flat_store_dword v[8:9], v19 offset:188
	flat_load_dword v20, v[4:5] offset:24
	flat_load_dword v21, v[6:7] offset:16
	flat_load_dwordx4 v[12:15], v[8:9] offset:208
	s_nop 0
	flat_load_dwordx4 v[16:19], v[8:9] offset:240
	s_waitcnt vmcnt(0) lgkmcnt(0)
	v_dot4c_i32_i8_e32 v12, v20, v21
	s_nop 2
	flat_store_dword v[8:9], v12 offset:208
	flat_load_dword v12, v[4:5] offset:24
	s_nop 0
	flat_load_dword v20, v[6:7] offset:20
	s_waitcnt vmcnt(0) lgkmcnt(0)
	v_dot4c_i32_i8_e32 v13, v12, v20
	s_nop 2
	flat_store_dword v[8:9], v13 offset:212
	flat_load_dword v12, v[4:5] offset:24
	s_nop 0
	flat_load_dword v13, v[6:7] offset:24
	s_waitcnt vmcnt(0) lgkmcnt(0)
	v_dot4c_i32_i8_e32 v14, v12, v13
	s_nop 2
	flat_store_dword v[8:9], v14 offset:216
	flat_load_dword v12, v[4:5] offset:24
	flat_load_dword v13, v[6:7] offset:28
	s_waitcnt vmcnt(0) lgkmcnt(0)
	v_dot4c_i32_i8_e32 v15, v12, v13
	s_nop 2
	flat_store_dword v[8:9], v15 offset:220
	flat_load_dword v12, v[4:5] offset:28
	;; [unrolled: 6-line block ×6, first 2 shown]
	flat_load_dwordx2 v[12:13], v[10:11]
	s_waitcnt vmcnt(0) lgkmcnt(0)
	v_ashrrev_i32_e32 v15, 31, v14
	v_add_co_u32_e32 v12, vcc, v12, v14
	v_addc_co_u32_e32 v13, vcc, v13, v15, vcc
	flat_load_dwordx4 v[12:15], v[12:13] offset:2304
	s_waitcnt vmcnt(0) lgkmcnt(0)
	flat_store_dwordx4 v[6:7], v[12:15] offset:16
	flat_load_dword v14, v[0:1] offset:16
	s_nop 0
	flat_load_dwordx2 v[12:13], v[2:3]
	s_waitcnt vmcnt(0) lgkmcnt(0)
	v_ashrrev_i32_e32 v15, 31, v14
	v_add_co_u32_e32 v16, vcc, v12, v14
	v_addc_co_u32_e32 v17, vcc, v13, v15, vcc
	flat_load_dwordx4 v[12:15], v[16:17] offset:2304
	flat_load_dword v20, v[4:5]
	s_waitcnt vmcnt(0) lgkmcnt(0)
	flat_store_dwordx4 v[4:5], v[12:15] offset:16
	flat_load_dword v21, v[6:7]
	s_nop 0
	flat_load_dwordx4 v[12:15], v[8:9]
	flat_load_dwordx4 v[16:19], v[8:9] offset:16
	s_waitcnt vmcnt(0) lgkmcnt(0)
	v_dot4c_i32_i8_e32 v12, v20, v21
	s_nop 2
	flat_store_dword v[8:9], v12
	flat_load_dword v12, v[4:5]
	s_nop 0
	flat_load_dword v20, v[6:7] offset:4
	s_waitcnt vmcnt(0) lgkmcnt(0)
	v_dot4c_i32_i8_e32 v13, v12, v20
	s_nop 2
	flat_store_dword v[8:9], v13 offset:4
	flat_load_dword v12, v[4:5]
	s_nop 0
	flat_load_dword v13, v[6:7] offset:8
	s_waitcnt vmcnt(0) lgkmcnt(0)
	v_dot4c_i32_i8_e32 v14, v12, v13
	s_nop 2
	flat_store_dword v[8:9], v14 offset:8
	flat_load_dword v12, v[4:5]
	flat_load_dword v13, v[6:7] offset:12
	s_waitcnt vmcnt(0) lgkmcnt(0)
	v_dot4c_i32_i8_e32 v15, v12, v13
	s_nop 2
	flat_store_dword v[8:9], v15 offset:12
	flat_load_dword v24, v[4:5] offset:4
	flat_load_dword v25, v[6:7]
	s_nop 0
	flat_load_dwordx4 v[12:15], v[8:9] offset:32
	flat_load_dwordx4 v[20:23], v[8:9] offset:48
	s_waitcnt vmcnt(0) lgkmcnt(0)
	v_dot4c_i32_i8_e32 v12, v24, v25
	s_nop 2
	flat_store_dword v[8:9], v12 offset:32
	flat_load_dword v12, v[4:5] offset:4
	s_nop 0
	flat_load_dword v24, v[6:7] offset:4
	s_waitcnt vmcnt(0) lgkmcnt(0)
	v_dot4c_i32_i8_e32 v13, v12, v24
	s_nop 2
	flat_store_dword v[8:9], v13 offset:36
	flat_load_dword v12, v[4:5] offset:4
	s_nop 0
	flat_load_dword v13, v[6:7] offset:8
	s_waitcnt vmcnt(0) lgkmcnt(0)
	v_dot4c_i32_i8_e32 v14, v12, v13
	s_nop 2
	flat_store_dword v[8:9], v14 offset:40
	flat_load_dword v12, v[4:5] offset:4
	flat_load_dword v13, v[6:7] offset:12
	s_waitcnt vmcnt(0) lgkmcnt(0)
	v_dot4c_i32_i8_e32 v15, v12, v13
	s_nop 2
	flat_store_dword v[8:9], v15 offset:44
	flat_load_dword v24, v[4:5] offset:8
	flat_load_dword v25, v[6:7]
	s_nop 0
	flat_load_dwordx4 v[12:15], v[8:9] offset:64
	s_waitcnt vmcnt(0) lgkmcnt(0)
	v_dot4c_i32_i8_e32 v12, v24, v25
	s_nop 2
	flat_store_dword v[8:9], v12 offset:64
	flat_load_dword v12, v[4:5] offset:8
	s_nop 0
	flat_load_dword v24, v[6:7] offset:4
	s_waitcnt vmcnt(0) lgkmcnt(0)
	v_dot4c_i32_i8_e32 v13, v12, v24
	s_nop 2
	flat_store_dword v[8:9], v13 offset:68
	flat_load_dword v12, v[4:5] offset:8
	s_nop 0
	flat_load_dword v13, v[6:7] offset:8
	s_waitcnt vmcnt(0) lgkmcnt(0)
	v_dot4c_i32_i8_e32 v14, v12, v13
	s_nop 2
	flat_store_dword v[8:9], v14 offset:72
	flat_load_dword v12, v[4:5] offset:8
	flat_load_dword v13, v[6:7] offset:12
	flat_load_dwordx4 v[24:27], v[8:9] offset:96
	s_waitcnt vmcnt(0) lgkmcnt(0)
	v_dot4c_i32_i8_e32 v15, v12, v13
	s_nop 2
	flat_store_dword v[8:9], v15 offset:76
	flat_load_dword v12, v[4:5] offset:12
	flat_load_dword v13, v[6:7]
	s_waitcnt vmcnt(0) lgkmcnt(0)
	v_dot4c_i32_i8_e32 v24, v12, v13
	s_nop 2
	flat_store_dword v[8:9], v24 offset:96
	flat_load_dword v12, v[4:5] offset:12
	flat_load_dword v13, v[6:7] offset:4
	s_waitcnt vmcnt(0) lgkmcnt(0)
	v_dot4c_i32_i8_e32 v25, v12, v13
	s_nop 2
	flat_store_dword v[8:9], v25 offset:100
	flat_load_dword v12, v[4:5] offset:12
	flat_load_dword v13, v[6:7] offset:8
	;; [unrolled: 6-line block ×3, first 2 shown]
	s_waitcnt vmcnt(0) lgkmcnt(0)
	v_dot4c_i32_i8_e32 v27, v12, v13
	s_nop 2
	flat_store_dword v[8:9], v27 offset:108
	flat_load_dword v12, v[4:5]
	flat_load_dword v13, v[6:7] offset:16
	s_waitcnt vmcnt(0) lgkmcnt(0)
	v_dot4c_i32_i8_e32 v16, v12, v13
	s_nop 2
	flat_store_dword v[8:9], v16 offset:16
	flat_load_dword v12, v[4:5]
	flat_load_dword v13, v[6:7] offset:20
	;; [unrolled: 6-line block ×4, first 2 shown]
	s_waitcnt vmcnt(0) lgkmcnt(0)
	v_dot4c_i32_i8_e32 v19, v12, v13
	s_nop 2
	flat_store_dword v[8:9], v19 offset:28
	flat_load_dword v12, v[4:5] offset:4
	flat_load_dword v13, v[6:7] offset:16
	s_waitcnt vmcnt(0) lgkmcnt(0)
	v_dot4c_i32_i8_e32 v20, v12, v13
	s_nop 2
	flat_store_dword v[8:9], v20 offset:48
	flat_load_dword v12, v[4:5] offset:4
	flat_load_dword v13, v[6:7] offset:20
	;; [unrolled: 6-line block ×4, first 2 shown]
	flat_load_dwordx4 v[12:15], v[8:9] offset:80
	s_waitcnt vmcnt(0) lgkmcnt(0)
	v_dot4c_i32_i8_e32 v23, v16, v17
	s_nop 2
	flat_store_dword v[8:9], v23 offset:60
	flat_load_dword v16, v[4:5] offset:8
	flat_load_dword v17, v[6:7] offset:16
	s_waitcnt vmcnt(0) lgkmcnt(0)
	v_dot4c_i32_i8_e32 v12, v16, v17
	s_nop 2
	flat_store_dword v[8:9], v12 offset:80
	flat_load_dword v12, v[4:5] offset:8
	s_nop 0
	flat_load_dword v16, v[6:7] offset:20
	s_waitcnt vmcnt(0) lgkmcnt(0)
	v_dot4c_i32_i8_e32 v13, v12, v16
	s_nop 2
	flat_store_dword v[8:9], v13 offset:84
	flat_load_dword v12, v[4:5] offset:8
	s_nop 0
	flat_load_dword v13, v[6:7] offset:24
	s_waitcnt vmcnt(0) lgkmcnt(0)
	v_dot4c_i32_i8_e32 v14, v12, v13
	s_nop 2
	flat_store_dword v[8:9], v14 offset:88
	flat_load_dword v12, v[4:5] offset:8
	flat_load_dword v13, v[6:7] offset:28
	flat_load_dwordx4 v[16:19], v[8:9] offset:112
	s_waitcnt vmcnt(0) lgkmcnt(0)
	v_dot4c_i32_i8_e32 v15, v12, v13
	s_nop 2
	flat_store_dword v[8:9], v15 offset:92
	flat_load_dword v12, v[4:5] offset:12
	flat_load_dword v13, v[6:7] offset:16
	s_waitcnt vmcnt(0) lgkmcnt(0)
	v_dot4c_i32_i8_e32 v16, v12, v13
	s_nop 2
	flat_store_dword v[8:9], v16 offset:112
	flat_load_dword v12, v[4:5] offset:12
	flat_load_dword v13, v[6:7] offset:20
	;; [unrolled: 6-line block ×4, first 2 shown]
	s_waitcnt vmcnt(0) lgkmcnt(0)
	v_dot4c_i32_i8_e32 v19, v12, v13
	s_nop 2
	flat_store_dword v[8:9], v19 offset:124
	flat_load_dword v14, v[0:1] offset:16
	flat_load_dwordx2 v[12:13], v[2:3]
	s_waitcnt vmcnt(0) lgkmcnt(0)
	v_ashrrev_i32_e32 v15, 31, v14
	v_add_co_u32_e32 v16, vcc, v12, v14
	v_addc_co_u32_e32 v17, vcc, v13, v15, vcc
	flat_load_dwordx4 v[12:15], v[16:17] offset:2560
	flat_load_dword v20, v[4:5] offset:16
	s_waitcnt vmcnt(0) lgkmcnt(0)
	flat_store_dwordx4 v[4:5], v[12:15]
	flat_load_dword v21, v[6:7]
	s_nop 0
	flat_load_dwordx4 v[12:15], v[8:9] offset:128
	flat_load_dwordx4 v[16:19], v[8:9] offset:160
	s_waitcnt vmcnt(0) lgkmcnt(0)
	v_dot4c_i32_i8_e32 v12, v20, v21
	s_nop 2
	flat_store_dword v[8:9], v12 offset:128
	flat_load_dword v12, v[4:5] offset:16
	s_nop 0
	flat_load_dword v20, v[6:7] offset:4
	s_waitcnt vmcnt(0) lgkmcnt(0)
	v_dot4c_i32_i8_e32 v13, v12, v20
	s_nop 2
	flat_store_dword v[8:9], v13 offset:132
	flat_load_dword v12, v[4:5] offset:16
	s_nop 0
	flat_load_dword v13, v[6:7] offset:8
	s_waitcnt vmcnt(0) lgkmcnt(0)
	v_dot4c_i32_i8_e32 v14, v12, v13
	s_nop 2
	flat_store_dword v[8:9], v14 offset:136
	flat_load_dword v12, v[4:5] offset:16
	flat_load_dword v13, v[6:7] offset:12
	s_waitcnt vmcnt(0) lgkmcnt(0)
	v_dot4c_i32_i8_e32 v15, v12, v13
	s_nop 2
	flat_store_dword v[8:9], v15 offset:140
	flat_load_dword v12, v[4:5] offset:20
	flat_load_dword v13, v[6:7]
	s_waitcnt vmcnt(0) lgkmcnt(0)
	v_dot4c_i32_i8_e32 v16, v12, v13
	s_nop 2
	flat_store_dword v[8:9], v16 offset:160
	flat_load_dword v12, v[4:5] offset:20
	flat_load_dword v13, v[6:7] offset:4
	s_waitcnt vmcnt(0) lgkmcnt(0)
	v_dot4c_i32_i8_e32 v17, v12, v13
	s_nop 2
	flat_store_dword v[8:9], v17 offset:164
	flat_load_dword v12, v[4:5] offset:20
	flat_load_dword v13, v[6:7] offset:8
	;; [unrolled: 6-line block ×3, first 2 shown]
	s_waitcnt vmcnt(0) lgkmcnt(0)
	v_dot4c_i32_i8_e32 v19, v12, v13
	s_nop 2
	flat_store_dword v[8:9], v19 offset:172
	flat_load_dword v20, v[4:5] offset:24
	flat_load_dword v21, v[6:7]
	flat_load_dwordx4 v[12:15], v[8:9] offset:192
	s_nop 0
	flat_load_dwordx4 v[16:19], v[8:9] offset:224
	s_waitcnt vmcnt(0) lgkmcnt(0)
	v_dot4c_i32_i8_e32 v12, v20, v21
	s_nop 2
	flat_store_dword v[8:9], v12 offset:192
	flat_load_dword v12, v[4:5] offset:24
	s_nop 0
	flat_load_dword v20, v[6:7] offset:4
	s_waitcnt vmcnt(0) lgkmcnt(0)
	v_dot4c_i32_i8_e32 v13, v12, v20
	s_nop 2
	flat_store_dword v[8:9], v13 offset:196
	flat_load_dword v12, v[4:5] offset:24
	s_nop 0
	flat_load_dword v13, v[6:7] offset:8
	s_waitcnt vmcnt(0) lgkmcnt(0)
	v_dot4c_i32_i8_e32 v14, v12, v13
	s_nop 2
	flat_store_dword v[8:9], v14 offset:200
	flat_load_dword v12, v[4:5] offset:24
	flat_load_dword v13, v[6:7] offset:12
	s_waitcnt vmcnt(0) lgkmcnt(0)
	v_dot4c_i32_i8_e32 v15, v12, v13
	s_nop 2
	flat_store_dword v[8:9], v15 offset:204
	flat_load_dword v12, v[4:5] offset:28
	flat_load_dword v13, v[6:7]
	s_waitcnt vmcnt(0) lgkmcnt(0)
	v_dot4c_i32_i8_e32 v16, v12, v13
	s_nop 2
	flat_store_dword v[8:9], v16 offset:224
	flat_load_dword v12, v[4:5] offset:28
	flat_load_dword v13, v[6:7] offset:4
	s_waitcnt vmcnt(0) lgkmcnt(0)
	v_dot4c_i32_i8_e32 v17, v12, v13
	s_nop 2
	flat_store_dword v[8:9], v17 offset:228
	flat_load_dword v12, v[4:5] offset:28
	flat_load_dword v13, v[6:7] offset:8
	;; [unrolled: 6-line block ×3, first 2 shown]
	s_waitcnt vmcnt(0) lgkmcnt(0)
	v_dot4c_i32_i8_e32 v19, v12, v13
	s_nop 2
	flat_store_dword v[8:9], v19 offset:236
	flat_load_dword v14, v[0:1] offset:48
	flat_load_dwordx2 v[12:13], v[10:11]
	s_waitcnt vmcnt(0) lgkmcnt(0)
	v_ashrrev_i32_e32 v15, 31, v14
	v_add_co_u32_e32 v16, vcc, v12, v14
	v_addc_co_u32_e32 v17, vcc, v13, v15, vcc
	flat_load_dwordx4 v[12:15], v[16:17] offset:2560
	flat_load_dword v20, v[6:7] offset:16
	s_waitcnt vmcnt(0) lgkmcnt(0)
	flat_store_dwordx4 v[6:7], v[12:15]
	flat_load_dword v21, v[4:5] offset:16
	s_nop 0
	flat_load_dwordx4 v[12:15], v[8:9] offset:144
	flat_load_dwordx4 v[16:19], v[8:9] offset:176
	s_waitcnt vmcnt(0) lgkmcnt(0)
	v_dot4c_i32_i8_e32 v12, v21, v20
	s_nop 2
	flat_store_dword v[8:9], v12 offset:144
	flat_load_dword v12, v[4:5] offset:16
	s_nop 0
	flat_load_dword v20, v[6:7] offset:20
	s_waitcnt vmcnt(0) lgkmcnt(0)
	v_dot4c_i32_i8_e32 v13, v12, v20
	s_nop 2
	flat_store_dword v[8:9], v13 offset:148
	flat_load_dword v12, v[4:5] offset:16
	s_nop 0
	flat_load_dword v13, v[6:7] offset:24
	s_waitcnt vmcnt(0) lgkmcnt(0)
	v_dot4c_i32_i8_e32 v14, v12, v13
	s_nop 2
	flat_store_dword v[8:9], v14 offset:152
	flat_load_dword v12, v[4:5] offset:16
	flat_load_dword v13, v[6:7] offset:28
	s_waitcnt vmcnt(0) lgkmcnt(0)
	v_dot4c_i32_i8_e32 v15, v12, v13
	s_nop 2
	flat_store_dword v[8:9], v15 offset:156
	flat_load_dword v12, v[4:5] offset:20
	flat_load_dword v13, v[6:7] offset:16
	s_waitcnt vmcnt(0) lgkmcnt(0)
	v_dot4c_i32_i8_e32 v16, v12, v13
	s_nop 2
	flat_store_dword v[8:9], v16 offset:176
	flat_load_dword v12, v[4:5] offset:20
	flat_load_dword v13, v[6:7] offset:20
	s_waitcnt vmcnt(0) lgkmcnt(0)
	v_dot4c_i32_i8_e32 v17, v12, v13
	s_nop 2
	flat_store_dword v[8:9], v17 offset:180
	flat_load_dword v12, v[4:5] offset:20
	flat_load_dword v13, v[6:7] offset:24
	s_waitcnt vmcnt(0) lgkmcnt(0)
	v_dot4c_i32_i8_e32 v18, v12, v13
	s_nop 2
	flat_store_dword v[8:9], v18 offset:184
	flat_load_dword v12, v[4:5] offset:20
	flat_load_dword v13, v[6:7] offset:28
	s_waitcnt vmcnt(0) lgkmcnt(0)
	v_dot4c_i32_i8_e32 v19, v12, v13
	s_nop 2
	flat_store_dword v[8:9], v19 offset:188
	flat_load_dword v20, v[4:5] offset:24
	flat_load_dword v21, v[6:7] offset:16
	flat_load_dwordx4 v[12:15], v[8:9] offset:208
	s_nop 0
	flat_load_dwordx4 v[16:19], v[8:9] offset:240
	s_waitcnt vmcnt(0) lgkmcnt(0)
	v_dot4c_i32_i8_e32 v12, v20, v21
	s_nop 2
	flat_store_dword v[8:9], v12 offset:208
	flat_load_dword v12, v[4:5] offset:24
	s_nop 0
	flat_load_dword v20, v[6:7] offset:20
	s_waitcnt vmcnt(0) lgkmcnt(0)
	v_dot4c_i32_i8_e32 v13, v12, v20
	s_nop 2
	flat_store_dword v[8:9], v13 offset:212
	flat_load_dword v12, v[4:5] offset:24
	s_nop 0
	flat_load_dword v13, v[6:7] offset:24
	s_waitcnt vmcnt(0) lgkmcnt(0)
	v_dot4c_i32_i8_e32 v14, v12, v13
	s_nop 2
	flat_store_dword v[8:9], v14 offset:216
	flat_load_dword v12, v[4:5] offset:24
	flat_load_dword v13, v[6:7] offset:28
	s_waitcnt vmcnt(0) lgkmcnt(0)
	v_dot4c_i32_i8_e32 v15, v12, v13
	s_nop 2
	flat_store_dword v[8:9], v15 offset:220
	flat_load_dword v12, v[4:5] offset:28
	;; [unrolled: 6-line block ×6, first 2 shown]
	flat_load_dwordx2 v[12:13], v[10:11]
	s_waitcnt vmcnt(0) lgkmcnt(0)
	v_ashrrev_i32_e32 v15, 31, v14
	v_add_co_u32_e32 v12, vcc, v12, v14
	v_addc_co_u32_e32 v13, vcc, v13, v15, vcc
	flat_load_dwordx4 v[12:15], v[12:13] offset:2816
	s_waitcnt vmcnt(0) lgkmcnt(0)
	flat_store_dwordx4 v[6:7], v[12:15] offset:16
	flat_load_dword v14, v[0:1] offset:16
	s_nop 0
	flat_load_dwordx2 v[12:13], v[2:3]
	s_waitcnt vmcnt(0) lgkmcnt(0)
	v_ashrrev_i32_e32 v15, 31, v14
	v_add_co_u32_e32 v16, vcc, v12, v14
	v_addc_co_u32_e32 v17, vcc, v13, v15, vcc
	flat_load_dwordx4 v[12:15], v[16:17] offset:2816
	flat_load_dword v20, v[4:5]
	s_waitcnt vmcnt(0) lgkmcnt(0)
	flat_store_dwordx4 v[4:5], v[12:15] offset:16
	flat_load_dword v21, v[6:7]
	flat_load_dwordx4 v[16:19], v[8:9]
	s_nop 0
	flat_load_dwordx4 v[12:15], v[8:9] offset:16
	s_waitcnt vmcnt(0) lgkmcnt(0)
	v_dot4c_i32_i8_e32 v16, v20, v21
	s_nop 2
	flat_store_dword v[8:9], v16
	flat_load_dword v16, v[4:5]
	s_nop 0
	flat_load_dword v20, v[6:7] offset:4
	s_waitcnt vmcnt(0) lgkmcnt(0)
	v_dot4c_i32_i8_e32 v17, v16, v20
	s_nop 2
	flat_store_dword v[8:9], v17 offset:4
	flat_load_dword v16, v[4:5]
	s_nop 0
	flat_load_dword v17, v[6:7] offset:8
	s_waitcnt vmcnt(0) lgkmcnt(0)
	v_dot4c_i32_i8_e32 v18, v16, v17
	s_nop 2
	flat_store_dword v[8:9], v18 offset:8
	flat_load_dword v16, v[4:5]
	flat_load_dword v17, v[6:7] offset:12
	s_waitcnt vmcnt(0) lgkmcnt(0)
	v_dot4c_i32_i8_e32 v19, v16, v17
	s_nop 2
	flat_store_dword v[8:9], v19 offset:12
	flat_load_dword v24, v[4:5] offset:4
	flat_load_dword v25, v[6:7]
	s_nop 0
	flat_load_dwordx4 v[16:19], v[8:9] offset:32
	flat_load_dwordx4 v[20:23], v[8:9] offset:48
	s_waitcnt vmcnt(0) lgkmcnt(0)
	v_dot4c_i32_i8_e32 v16, v24, v25
	s_nop 2
	flat_store_dword v[8:9], v16 offset:32
	flat_load_dword v16, v[4:5] offset:4
	s_nop 0
	flat_load_dword v24, v[6:7] offset:4
	s_waitcnt vmcnt(0) lgkmcnt(0)
	v_dot4c_i32_i8_e32 v17, v16, v24
	s_nop 2
	flat_store_dword v[8:9], v17 offset:36
	flat_load_dword v16, v[4:5] offset:4
	s_nop 0
	flat_load_dword v17, v[6:7] offset:8
	s_waitcnt vmcnt(0) lgkmcnt(0)
	v_dot4c_i32_i8_e32 v18, v16, v17
	s_nop 2
	flat_store_dword v[8:9], v18 offset:40
	flat_load_dword v16, v[4:5] offset:4
	flat_load_dword v17, v[6:7] offset:12
	s_waitcnt vmcnt(0) lgkmcnt(0)
	v_dot4c_i32_i8_e32 v19, v16, v17
	s_nop 2
	flat_store_dword v[8:9], v19 offset:44
	flat_load_dword v28, v[4:5] offset:8
	flat_load_dword v29, v[6:7]
	s_nop 0
	flat_load_dwordx4 v[16:19], v[8:9] offset:64
	flat_load_dwordx4 v[24:27], v[8:9] offset:80
	s_waitcnt vmcnt(0) lgkmcnt(0)
	v_dot4c_i32_i8_e32 v16, v28, v29
	s_nop 2
	flat_store_dword v[8:9], v16 offset:64
	flat_load_dword v16, v[4:5] offset:8
	s_nop 0
	flat_load_dword v28, v[6:7] offset:4
	s_waitcnt vmcnt(0) lgkmcnt(0)
	v_dot4c_i32_i8_e32 v17, v16, v28
	s_nop 2
	flat_store_dword v[8:9], v17 offset:68
	flat_load_dword v16, v[4:5] offset:8
	s_nop 0
	flat_load_dword v17, v[6:7] offset:8
	s_waitcnt vmcnt(0) lgkmcnt(0)
	v_dot4c_i32_i8_e32 v18, v16, v17
	s_nop 2
	flat_store_dword v[8:9], v18 offset:72
	flat_load_dword v16, v[4:5] offset:8
	flat_load_dword v17, v[6:7] offset:12
	s_waitcnt vmcnt(0) lgkmcnt(0)
	v_dot4c_i32_i8_e32 v19, v16, v17
	s_nop 2
	flat_store_dword v[8:9], v19 offset:76
	flat_load_dword v32, v[4:5] offset:12
	flat_load_dword v33, v[6:7]
	s_nop 0
	flat_load_dwordx4 v[16:19], v[8:9] offset:96
	flat_load_dwordx4 v[28:31], v[8:9] offset:112
	s_waitcnt vmcnt(0) lgkmcnt(0)
	v_dot4c_i32_i8_e32 v16, v32, v33
	s_nop 2
	flat_store_dword v[8:9], v16 offset:96
	flat_load_dword v16, v[4:5] offset:12
	s_nop 0
	flat_load_dword v32, v[6:7] offset:4
	s_waitcnt vmcnt(0) lgkmcnt(0)
	v_dot4c_i32_i8_e32 v17, v16, v32
	s_nop 2
	flat_store_dword v[8:9], v17 offset:100
	flat_load_dword v16, v[4:5] offset:12
	s_nop 0
	flat_load_dword v17, v[6:7] offset:8
	s_waitcnt vmcnt(0) lgkmcnt(0)
	v_dot4c_i32_i8_e32 v18, v16, v17
	s_nop 2
	flat_store_dword v[8:9], v18 offset:104
	flat_load_dword v16, v[4:5] offset:12
	flat_load_dword v17, v[6:7] offset:12
	s_waitcnt vmcnt(0) lgkmcnt(0)
	v_dot4c_i32_i8_e32 v19, v16, v17
	s_nop 2
	flat_store_dword v[8:9], v19 offset:108
	flat_load_dword v16, v[4:5]
	flat_load_dword v17, v[6:7] offset:16
	s_waitcnt vmcnt(0) lgkmcnt(0)
	v_dot4c_i32_i8_e32 v12, v16, v17
	s_nop 2
	flat_store_dword v[8:9], v12 offset:16
	flat_load_dword v12, v[4:5]
	s_nop 0
	flat_load_dword v16, v[6:7] offset:20
	s_waitcnt vmcnt(0) lgkmcnt(0)
	v_dot4c_i32_i8_e32 v13, v12, v16
	s_nop 2
	flat_store_dword v[8:9], v13 offset:20
	flat_load_dword v12, v[4:5]
	s_nop 0
	flat_load_dword v13, v[6:7] offset:24
	s_waitcnt vmcnt(0) lgkmcnt(0)
	v_dot4c_i32_i8_e32 v14, v12, v13
	s_nop 2
	flat_store_dword v[8:9], v14 offset:24
	flat_load_dword v12, v[4:5]
	flat_load_dword v13, v[6:7] offset:28
	s_waitcnt vmcnt(0) lgkmcnt(0)
	v_dot4c_i32_i8_e32 v15, v12, v13
	s_nop 2
	flat_store_dword v[8:9], v15 offset:28
	flat_load_dword v12, v[4:5] offset:4
	flat_load_dword v13, v[6:7] offset:16
	s_waitcnt vmcnt(0) lgkmcnt(0)
	v_dot4c_i32_i8_e32 v20, v12, v13
	s_nop 2
	flat_store_dword v[8:9], v20 offset:48
	flat_load_dword v12, v[4:5] offset:4
	;; [unrolled: 6-line block ×13, first 2 shown]
	flat_load_dwordx2 v[12:13], v[2:3]
	s_waitcnt vmcnt(0) lgkmcnt(0)
	v_ashrrev_i32_e32 v15, 31, v14
	v_add_co_u32_e32 v16, vcc, v12, v14
	v_addc_co_u32_e32 v17, vcc, v13, v15, vcc
	flat_load_dwordx4 v[12:15], v[16:17] offset:3072
	flat_load_dword v20, v[4:5] offset:16
	s_waitcnt vmcnt(0) lgkmcnt(0)
	flat_store_dwordx4 v[4:5], v[12:15]
	flat_load_dword v21, v[6:7]
	s_nop 0
	flat_load_dwordx4 v[12:15], v[8:9] offset:128
	flat_load_dwordx4 v[16:19], v[8:9] offset:160
	s_waitcnt vmcnt(0) lgkmcnt(0)
	v_dot4c_i32_i8_e32 v12, v20, v21
	s_nop 2
	flat_store_dword v[8:9], v12 offset:128
	flat_load_dword v12, v[4:5] offset:16
	s_nop 0
	flat_load_dword v20, v[6:7] offset:4
	s_waitcnt vmcnt(0) lgkmcnt(0)
	v_dot4c_i32_i8_e32 v13, v12, v20
	s_nop 2
	flat_store_dword v[8:9], v13 offset:132
	flat_load_dword v12, v[4:5] offset:16
	s_nop 0
	flat_load_dword v13, v[6:7] offset:8
	s_waitcnt vmcnt(0) lgkmcnt(0)
	v_dot4c_i32_i8_e32 v14, v12, v13
	s_nop 2
	flat_store_dword v[8:9], v14 offset:136
	flat_load_dword v12, v[4:5] offset:16
	flat_load_dword v13, v[6:7] offset:12
	s_waitcnt vmcnt(0) lgkmcnt(0)
	v_dot4c_i32_i8_e32 v15, v12, v13
	s_nop 2
	flat_store_dword v[8:9], v15 offset:140
	flat_load_dword v12, v[4:5] offset:20
	flat_load_dword v13, v[6:7]
	s_waitcnt vmcnt(0) lgkmcnt(0)
	v_dot4c_i32_i8_e32 v16, v12, v13
	s_nop 2
	flat_store_dword v[8:9], v16 offset:160
	flat_load_dword v12, v[4:5] offset:20
	flat_load_dword v13, v[6:7] offset:4
	s_waitcnt vmcnt(0) lgkmcnt(0)
	v_dot4c_i32_i8_e32 v17, v12, v13
	s_nop 2
	flat_store_dword v[8:9], v17 offset:164
	flat_load_dword v12, v[4:5] offset:20
	flat_load_dword v13, v[6:7] offset:8
	;; [unrolled: 6-line block ×3, first 2 shown]
	s_waitcnt vmcnt(0) lgkmcnt(0)
	v_dot4c_i32_i8_e32 v19, v12, v13
	s_nop 2
	flat_store_dword v[8:9], v19 offset:172
	flat_load_dword v20, v[4:5] offset:24
	flat_load_dword v21, v[6:7]
	flat_load_dwordx4 v[12:15], v[8:9] offset:192
	s_nop 0
	flat_load_dwordx4 v[16:19], v[8:9] offset:224
	s_waitcnt vmcnt(0) lgkmcnt(0)
	v_dot4c_i32_i8_e32 v12, v20, v21
	s_nop 2
	flat_store_dword v[8:9], v12 offset:192
	flat_load_dword v12, v[4:5] offset:24
	s_nop 0
	flat_load_dword v20, v[6:7] offset:4
	s_waitcnt vmcnt(0) lgkmcnt(0)
	v_dot4c_i32_i8_e32 v13, v12, v20
	s_nop 2
	flat_store_dword v[8:9], v13 offset:196
	flat_load_dword v12, v[4:5] offset:24
	s_nop 0
	flat_load_dword v13, v[6:7] offset:8
	s_waitcnt vmcnt(0) lgkmcnt(0)
	v_dot4c_i32_i8_e32 v14, v12, v13
	s_nop 2
	flat_store_dword v[8:9], v14 offset:200
	flat_load_dword v12, v[4:5] offset:24
	flat_load_dword v13, v[6:7] offset:12
	s_waitcnt vmcnt(0) lgkmcnt(0)
	v_dot4c_i32_i8_e32 v15, v12, v13
	s_nop 2
	flat_store_dword v[8:9], v15 offset:204
	flat_load_dword v12, v[4:5] offset:28
	flat_load_dword v13, v[6:7]
	s_waitcnt vmcnt(0) lgkmcnt(0)
	v_dot4c_i32_i8_e32 v16, v12, v13
	s_nop 2
	flat_store_dword v[8:9], v16 offset:224
	flat_load_dword v12, v[4:5] offset:28
	flat_load_dword v13, v[6:7] offset:4
	s_waitcnt vmcnt(0) lgkmcnt(0)
	v_dot4c_i32_i8_e32 v17, v12, v13
	s_nop 2
	flat_store_dword v[8:9], v17 offset:228
	flat_load_dword v12, v[4:5] offset:28
	flat_load_dword v13, v[6:7] offset:8
	;; [unrolled: 6-line block ×3, first 2 shown]
	s_waitcnt vmcnt(0) lgkmcnt(0)
	v_dot4c_i32_i8_e32 v19, v12, v13
	s_nop 2
	flat_store_dword v[8:9], v19 offset:236
	flat_load_dword v14, v[0:1] offset:48
	flat_load_dwordx2 v[12:13], v[10:11]
	s_waitcnt vmcnt(0) lgkmcnt(0)
	v_ashrrev_i32_e32 v15, 31, v14
	v_add_co_u32_e32 v16, vcc, v12, v14
	v_addc_co_u32_e32 v17, vcc, v13, v15, vcc
	flat_load_dwordx4 v[12:15], v[16:17] offset:3072
	flat_load_dword v20, v[6:7] offset:16
	s_waitcnt vmcnt(0) lgkmcnt(0)
	flat_store_dwordx4 v[6:7], v[12:15]
	flat_load_dword v21, v[4:5] offset:16
	s_nop 0
	flat_load_dwordx4 v[12:15], v[8:9] offset:144
	flat_load_dwordx4 v[16:19], v[8:9] offset:176
	s_waitcnt vmcnt(0) lgkmcnt(0)
	v_dot4c_i32_i8_e32 v12, v21, v20
	s_nop 2
	flat_store_dword v[8:9], v12 offset:144
	flat_load_dword v12, v[4:5] offset:16
	s_nop 0
	flat_load_dword v20, v[6:7] offset:20
	s_waitcnt vmcnt(0) lgkmcnt(0)
	v_dot4c_i32_i8_e32 v13, v12, v20
	s_nop 2
	flat_store_dword v[8:9], v13 offset:148
	flat_load_dword v12, v[4:5] offset:16
	s_nop 0
	flat_load_dword v13, v[6:7] offset:24
	s_waitcnt vmcnt(0) lgkmcnt(0)
	v_dot4c_i32_i8_e32 v14, v12, v13
	s_nop 2
	flat_store_dword v[8:9], v14 offset:152
	flat_load_dword v12, v[4:5] offset:16
	flat_load_dword v13, v[6:7] offset:28
	s_waitcnt vmcnt(0) lgkmcnt(0)
	v_dot4c_i32_i8_e32 v15, v12, v13
	s_nop 2
	flat_store_dword v[8:9], v15 offset:156
	flat_load_dword v12, v[4:5] offset:20
	;; [unrolled: 6-line block ×6, first 2 shown]
	flat_load_dword v21, v[6:7] offset:16
	flat_load_dwordx4 v[12:15], v[8:9] offset:208
	s_nop 0
	flat_load_dwordx4 v[16:19], v[8:9] offset:240
	s_waitcnt vmcnt(0) lgkmcnt(0)
	v_dot4c_i32_i8_e32 v12, v20, v21
	s_nop 2
	flat_store_dword v[8:9], v12 offset:208
	flat_load_dword v12, v[4:5] offset:24
	s_nop 0
	flat_load_dword v20, v[6:7] offset:20
	s_waitcnt vmcnt(0) lgkmcnt(0)
	v_dot4c_i32_i8_e32 v13, v12, v20
	s_nop 2
	flat_store_dword v[8:9], v13 offset:212
	flat_load_dword v12, v[4:5] offset:24
	s_nop 0
	flat_load_dword v13, v[6:7] offset:24
	s_waitcnt vmcnt(0) lgkmcnt(0)
	v_dot4c_i32_i8_e32 v14, v12, v13
	s_nop 2
	flat_store_dword v[8:9], v14 offset:216
	flat_load_dword v12, v[4:5] offset:24
	flat_load_dword v13, v[6:7] offset:28
	s_waitcnt vmcnt(0) lgkmcnt(0)
	v_dot4c_i32_i8_e32 v15, v12, v13
	s_nop 2
	flat_store_dword v[8:9], v15 offset:220
	flat_load_dword v12, v[4:5] offset:28
	flat_load_dword v13, v[6:7] offset:16
	s_waitcnt vmcnt(0) lgkmcnt(0)
	v_dot4c_i32_i8_e32 v16, v12, v13
	s_nop 2
	flat_store_dword v[8:9], v16 offset:240
	flat_load_dword v12, v[4:5] offset:28
	flat_load_dword v13, v[6:7] offset:20
	s_waitcnt vmcnt(0) lgkmcnt(0)
	v_dot4c_i32_i8_e32 v17, v12, v13
	s_nop 2
	flat_store_dword v[8:9], v17 offset:244
	flat_load_dword v12, v[4:5] offset:28
	flat_load_dword v13, v[6:7] offset:24
	s_waitcnt vmcnt(0) lgkmcnt(0)
	v_dot4c_i32_i8_e32 v18, v12, v13
	s_nop 2
	flat_store_dword v[8:9], v18 offset:248
	flat_load_dword v12, v[4:5] offset:28
	flat_load_dword v13, v[6:7] offset:28
	s_waitcnt vmcnt(0) lgkmcnt(0)
	v_dot4c_i32_i8_e32 v19, v12, v13
	s_nop 2
	flat_store_dword v[8:9], v19 offset:252
	flat_load_dword v14, v[0:1] offset:48
	flat_load_dwordx2 v[12:13], v[10:11]
	s_waitcnt vmcnt(0) lgkmcnt(0)
	v_ashrrev_i32_e32 v15, 31, v14
	v_add_co_u32_e32 v12, vcc, v12, v14
	v_addc_co_u32_e32 v13, vcc, v13, v15, vcc
	flat_load_dwordx4 v[12:15], v[12:13] offset:3328
	s_waitcnt vmcnt(0) lgkmcnt(0)
	flat_store_dwordx4 v[6:7], v[12:15] offset:16
	flat_load_dword v14, v[0:1] offset:16
	s_nop 0
	flat_load_dwordx2 v[12:13], v[2:3]
	s_waitcnt vmcnt(0) lgkmcnt(0)
	v_ashrrev_i32_e32 v15, 31, v14
	v_add_co_u32_e32 v16, vcc, v12, v14
	v_addc_co_u32_e32 v17, vcc, v13, v15, vcc
	flat_load_dwordx4 v[12:15], v[16:17] offset:3328
	flat_load_dword v20, v[4:5]
	s_waitcnt vmcnt(0) lgkmcnt(0)
	flat_store_dwordx4 v[4:5], v[12:15] offset:16
	flat_load_dword v21, v[6:7]
	flat_load_dwordx4 v[16:19], v[8:9]
	s_nop 0
	flat_load_dwordx4 v[12:15], v[8:9] offset:16
	s_waitcnt vmcnt(0) lgkmcnt(0)
	v_dot4c_i32_i8_e32 v16, v20, v21
	s_nop 2
	flat_store_dword v[8:9], v16
	flat_load_dword v16, v[4:5]
	s_nop 0
	flat_load_dword v20, v[6:7] offset:4
	s_waitcnt vmcnt(0) lgkmcnt(0)
	v_dot4c_i32_i8_e32 v17, v16, v20
	s_nop 2
	flat_store_dword v[8:9], v17 offset:4
	flat_load_dword v16, v[4:5]
	s_nop 0
	flat_load_dword v17, v[6:7] offset:8
	s_waitcnt vmcnt(0) lgkmcnt(0)
	v_dot4c_i32_i8_e32 v18, v16, v17
	s_nop 2
	flat_store_dword v[8:9], v18 offset:8
	flat_load_dword v16, v[4:5]
	flat_load_dword v17, v[6:7] offset:12
	s_waitcnt vmcnt(0) lgkmcnt(0)
	v_dot4c_i32_i8_e32 v19, v16, v17
	s_nop 2
	flat_store_dword v[8:9], v19 offset:12
	flat_load_dword v24, v[4:5] offset:4
	flat_load_dword v25, v[6:7]
	s_nop 0
	flat_load_dwordx4 v[16:19], v[8:9] offset:32
	flat_load_dwordx4 v[20:23], v[8:9] offset:48
	s_waitcnt vmcnt(0) lgkmcnt(0)
	v_dot4c_i32_i8_e32 v16, v24, v25
	s_nop 2
	flat_store_dword v[8:9], v16 offset:32
	flat_load_dword v16, v[4:5] offset:4
	s_nop 0
	flat_load_dword v24, v[6:7] offset:4
	s_waitcnt vmcnt(0) lgkmcnt(0)
	v_dot4c_i32_i8_e32 v17, v16, v24
	s_nop 2
	flat_store_dword v[8:9], v17 offset:36
	flat_load_dword v16, v[4:5] offset:4
	s_nop 0
	flat_load_dword v17, v[6:7] offset:8
	s_waitcnt vmcnt(0) lgkmcnt(0)
	v_dot4c_i32_i8_e32 v18, v16, v17
	s_nop 2
	flat_store_dword v[8:9], v18 offset:40
	flat_load_dword v16, v[4:5] offset:4
	flat_load_dword v17, v[6:7] offset:12
	s_waitcnt vmcnt(0) lgkmcnt(0)
	v_dot4c_i32_i8_e32 v19, v16, v17
	s_nop 2
	flat_store_dword v[8:9], v19 offset:44
	flat_load_dword v28, v[4:5] offset:8
	flat_load_dword v29, v[6:7]
	s_nop 0
	flat_load_dwordx4 v[16:19], v[8:9] offset:64
	flat_load_dwordx4 v[24:27], v[8:9] offset:80
	s_waitcnt vmcnt(0) lgkmcnt(0)
	v_dot4c_i32_i8_e32 v16, v28, v29
	s_nop 2
	flat_store_dword v[8:9], v16 offset:64
	flat_load_dword v16, v[4:5] offset:8
	s_nop 0
	flat_load_dword v28, v[6:7] offset:4
	s_waitcnt vmcnt(0) lgkmcnt(0)
	v_dot4c_i32_i8_e32 v17, v16, v28
	s_nop 2
	flat_store_dword v[8:9], v17 offset:68
	flat_load_dword v16, v[4:5] offset:8
	s_nop 0
	flat_load_dword v17, v[6:7] offset:8
	s_waitcnt vmcnt(0) lgkmcnt(0)
	v_dot4c_i32_i8_e32 v18, v16, v17
	s_nop 2
	flat_store_dword v[8:9], v18 offset:72
	flat_load_dword v16, v[4:5] offset:8
	;; [unrolled: 29-line block ×3, first 2 shown]
	flat_load_dword v17, v[6:7] offset:12
	s_waitcnt vmcnt(0) lgkmcnt(0)
	v_dot4c_i32_i8_e32 v19, v16, v17
	s_nop 2
	flat_store_dword v[8:9], v19 offset:108
	flat_load_dword v16, v[4:5]
	flat_load_dword v17, v[6:7] offset:16
	s_waitcnt vmcnt(0) lgkmcnt(0)
	v_dot4c_i32_i8_e32 v12, v16, v17
	s_nop 2
	flat_store_dword v[8:9], v12 offset:16
	flat_load_dword v12, v[4:5]
	s_nop 0
	flat_load_dword v16, v[6:7] offset:20
	s_waitcnt vmcnt(0) lgkmcnt(0)
	v_dot4c_i32_i8_e32 v13, v12, v16
	s_nop 2
	flat_store_dword v[8:9], v13 offset:20
	flat_load_dword v12, v[4:5]
	s_nop 0
	flat_load_dword v13, v[6:7] offset:24
	s_waitcnt vmcnt(0) lgkmcnt(0)
	v_dot4c_i32_i8_e32 v14, v12, v13
	s_nop 2
	flat_store_dword v[8:9], v14 offset:24
	flat_load_dword v12, v[4:5]
	flat_load_dword v13, v[6:7] offset:28
	s_waitcnt vmcnt(0) lgkmcnt(0)
	v_dot4c_i32_i8_e32 v15, v12, v13
	s_nop 2
	flat_store_dword v[8:9], v15 offset:28
	flat_load_dword v12, v[4:5] offset:4
	flat_load_dword v13, v[6:7] offset:16
	s_waitcnt vmcnt(0) lgkmcnt(0)
	v_dot4c_i32_i8_e32 v20, v12, v13
	s_nop 2
	flat_store_dword v[8:9], v20 offset:48
	flat_load_dword v12, v[4:5] offset:4
	flat_load_dword v13, v[6:7] offset:20
	s_waitcnt vmcnt(0) lgkmcnt(0)
	v_dot4c_i32_i8_e32 v21, v12, v13
	s_nop 2
	flat_store_dword v[8:9], v21 offset:52
	flat_load_dword v12, v[4:5] offset:4
	flat_load_dword v13, v[6:7] offset:24
	s_waitcnt vmcnt(0) lgkmcnt(0)
	v_dot4c_i32_i8_e32 v22, v12, v13
	s_nop 2
	flat_store_dword v[8:9], v22 offset:56
	flat_load_dword v12, v[4:5] offset:4
	flat_load_dword v13, v[6:7] offset:28
	s_waitcnt vmcnt(0) lgkmcnt(0)
	v_dot4c_i32_i8_e32 v23, v12, v13
	s_nop 2
	flat_store_dword v[8:9], v23 offset:60
	flat_load_dword v12, v[4:5] offset:8
	flat_load_dword v13, v[6:7] offset:16
	s_waitcnt vmcnt(0) lgkmcnt(0)
	v_dot4c_i32_i8_e32 v24, v12, v13
	s_nop 2
	flat_store_dword v[8:9], v24 offset:80
	flat_load_dword v12, v[4:5] offset:8
	flat_load_dword v13, v[6:7] offset:20
	s_waitcnt vmcnt(0) lgkmcnt(0)
	v_dot4c_i32_i8_e32 v25, v12, v13
	s_nop 2
	flat_store_dword v[8:9], v25 offset:84
	flat_load_dword v12, v[4:5] offset:8
	flat_load_dword v13, v[6:7] offset:24
	s_waitcnt vmcnt(0) lgkmcnt(0)
	v_dot4c_i32_i8_e32 v26, v12, v13
	s_nop 2
	flat_store_dword v[8:9], v26 offset:88
	flat_load_dword v12, v[4:5] offset:8
	flat_load_dword v13, v[6:7] offset:28
	s_waitcnt vmcnt(0) lgkmcnt(0)
	v_dot4c_i32_i8_e32 v27, v12, v13
	s_nop 2
	flat_store_dword v[8:9], v27 offset:92
	flat_load_dword v12, v[4:5] offset:12
	flat_load_dword v13, v[6:7] offset:16
	s_waitcnt vmcnt(0) lgkmcnt(0)
	v_dot4c_i32_i8_e32 v28, v12, v13
	s_nop 2
	flat_store_dword v[8:9], v28 offset:112
	flat_load_dword v12, v[4:5] offset:12
	flat_load_dword v13, v[6:7] offset:20
	s_waitcnt vmcnt(0) lgkmcnt(0)
	v_dot4c_i32_i8_e32 v29, v12, v13
	s_nop 2
	flat_store_dword v[8:9], v29 offset:116
	flat_load_dword v12, v[4:5] offset:12
	flat_load_dword v13, v[6:7] offset:24
	s_waitcnt vmcnt(0) lgkmcnt(0)
	v_dot4c_i32_i8_e32 v30, v12, v13
	s_nop 2
	flat_store_dword v[8:9], v30 offset:120
	flat_load_dword v12, v[4:5] offset:12
	flat_load_dword v13, v[6:7] offset:28
	s_waitcnt vmcnt(0) lgkmcnt(0)
	v_dot4c_i32_i8_e32 v31, v12, v13
	s_nop 2
	flat_store_dword v[8:9], v31 offset:124
	flat_load_dword v14, v[0:1] offset:16
	flat_load_dwordx2 v[12:13], v[2:3]
	s_waitcnt vmcnt(0) lgkmcnt(0)
	v_ashrrev_i32_e32 v15, 31, v14
	v_add_co_u32_e32 v16, vcc, v12, v14
	v_addc_co_u32_e32 v17, vcc, v13, v15, vcc
	flat_load_dwordx4 v[12:15], v[16:17] offset:3584
	flat_load_dword v18, v[4:5] offset:16
	s_waitcnt vmcnt(0) lgkmcnt(0)
	flat_store_dwordx4 v[4:5], v[12:15]
	flat_load_dword v16, v[6:7]
	s_nop 0
	flat_load_dwordx4 v[12:15], v[8:9] offset:128
	s_waitcnt vmcnt(0) lgkmcnt(0)
	v_dot4c_i32_i8_e32 v12, v18, v16
	s_nop 2
	flat_store_dword v[8:9], v12 offset:128
	flat_load_dword v12, v[4:5] offset:16
	s_nop 0
	flat_load_dword v16, v[6:7] offset:4
	s_waitcnt vmcnt(0) lgkmcnt(0)
	v_dot4c_i32_i8_e32 v13, v12, v16
	s_nop 2
	flat_store_dword v[8:9], v13 offset:132
	flat_load_dword v12, v[4:5] offset:16
	s_nop 0
	flat_load_dword v13, v[6:7] offset:8
	s_waitcnt vmcnt(0) lgkmcnt(0)
	v_dot4c_i32_i8_e32 v14, v12, v13
	s_nop 2
	flat_store_dword v[8:9], v14 offset:136
	flat_load_dword v12, v[4:5] offset:16
	flat_load_dword v13, v[6:7] offset:12
	s_waitcnt vmcnt(0) lgkmcnt(0)
	v_dot4c_i32_i8_e32 v15, v12, v13
	s_nop 2
	flat_store_dword v[8:9], v15 offset:140
	flat_load_dword v16, v[4:5] offset:20
	flat_load_dword v17, v[6:7]
	s_nop 0
	flat_load_dwordx4 v[12:15], v[8:9] offset:160
	s_waitcnt vmcnt(0) lgkmcnt(0)
	v_dot4c_i32_i8_e32 v12, v16, v17
	s_nop 2
	flat_store_dword v[8:9], v12 offset:160
	flat_load_dword v12, v[4:5] offset:20
	s_nop 0
	flat_load_dword v16, v[6:7] offset:4
	s_waitcnt vmcnt(0) lgkmcnt(0)
	v_dot4c_i32_i8_e32 v13, v12, v16
	s_nop 2
	flat_store_dword v[8:9], v13 offset:164
	flat_load_dword v12, v[4:5] offset:20
	s_nop 0
	flat_load_dword v13, v[6:7] offset:8
	s_waitcnt vmcnt(0) lgkmcnt(0)
	v_dot4c_i32_i8_e32 v14, v12, v13
	s_nop 2
	flat_store_dword v[8:9], v14 offset:168
	flat_load_dword v12, v[4:5] offset:20
	flat_load_dword v13, v[6:7] offset:12
	s_waitcnt vmcnt(0) lgkmcnt(0)
	v_dot4c_i32_i8_e32 v15, v12, v13
	s_nop 2
	flat_store_dword v[8:9], v15 offset:172
	flat_load_dword v20, v[4:5] offset:24
	flat_load_dword v21, v[6:7]
	s_nop 0
	flat_load_dwordx4 v[12:15], v[8:9] offset:192
	flat_load_dwordx4 v[16:19], v[8:9] offset:224
	s_waitcnt vmcnt(0) lgkmcnt(0)
	v_dot4c_i32_i8_e32 v12, v20, v21
	s_nop 2
	flat_store_dword v[8:9], v12 offset:192
	flat_load_dword v12, v[4:5] offset:24
	s_nop 0
	flat_load_dword v20, v[6:7] offset:4
	s_waitcnt vmcnt(0) lgkmcnt(0)
	v_dot4c_i32_i8_e32 v13, v12, v20
	s_nop 2
	flat_store_dword v[8:9], v13 offset:196
	flat_load_dword v12, v[4:5] offset:24
	s_nop 0
	flat_load_dword v13, v[6:7] offset:8
	s_waitcnt vmcnt(0) lgkmcnt(0)
	v_dot4c_i32_i8_e32 v14, v12, v13
	s_nop 2
	flat_store_dword v[8:9], v14 offset:200
	flat_load_dword v12, v[4:5] offset:24
	flat_load_dword v13, v[6:7] offset:12
	s_waitcnt vmcnt(0) lgkmcnt(0)
	v_dot4c_i32_i8_e32 v15, v12, v13
	s_nop 2
	flat_store_dword v[8:9], v15 offset:204
	flat_load_dword v12, v[4:5] offset:28
	flat_load_dword v13, v[6:7]
	s_waitcnt vmcnt(0) lgkmcnt(0)
	v_dot4c_i32_i8_e32 v16, v12, v13
	s_nop 2
	flat_store_dword v[8:9], v16 offset:224
	flat_load_dword v12, v[4:5] offset:28
	flat_load_dword v13, v[6:7] offset:4
	s_waitcnt vmcnt(0) lgkmcnt(0)
	v_dot4c_i32_i8_e32 v17, v12, v13
	s_nop 2
	flat_store_dword v[8:9], v17 offset:228
	flat_load_dword v12, v[4:5] offset:28
	flat_load_dword v13, v[6:7] offset:8
	;; [unrolled: 6-line block ×3, first 2 shown]
	s_waitcnt vmcnt(0) lgkmcnt(0)
	v_dot4c_i32_i8_e32 v19, v12, v13
	s_nop 2
	flat_store_dword v[8:9], v19 offset:236
	flat_load_dword v14, v[0:1] offset:48
	flat_load_dwordx2 v[12:13], v[10:11]
	s_waitcnt vmcnt(0) lgkmcnt(0)
	v_ashrrev_i32_e32 v15, 31, v14
	v_add_co_u32_e32 v16, vcc, v12, v14
	v_addc_co_u32_e32 v17, vcc, v13, v15, vcc
	flat_load_dwordx4 v[12:15], v[16:17] offset:3584
	flat_load_dword v20, v[6:7] offset:16
	s_waitcnt vmcnt(0) lgkmcnt(0)
	flat_store_dwordx4 v[6:7], v[12:15]
	flat_load_dword v21, v[4:5] offset:16
	s_nop 0
	flat_load_dwordx4 v[12:15], v[8:9] offset:144
	flat_load_dwordx4 v[16:19], v[8:9] offset:176
	s_waitcnt vmcnt(0) lgkmcnt(0)
	v_dot4c_i32_i8_e32 v12, v21, v20
	s_nop 2
	flat_store_dword v[8:9], v12 offset:144
	flat_load_dword v12, v[4:5] offset:16
	s_nop 0
	flat_load_dword v20, v[6:7] offset:20
	s_waitcnt vmcnt(0) lgkmcnt(0)
	v_dot4c_i32_i8_e32 v13, v12, v20
	s_nop 2
	flat_store_dword v[8:9], v13 offset:148
	flat_load_dword v12, v[4:5] offset:16
	s_nop 0
	flat_load_dword v13, v[6:7] offset:24
	s_waitcnt vmcnt(0) lgkmcnt(0)
	v_dot4c_i32_i8_e32 v14, v12, v13
	s_nop 2
	flat_store_dword v[8:9], v14 offset:152
	flat_load_dword v12, v[4:5] offset:16
	flat_load_dword v13, v[6:7] offset:28
	s_waitcnt vmcnt(0) lgkmcnt(0)
	v_dot4c_i32_i8_e32 v15, v12, v13
	s_nop 2
	flat_store_dword v[8:9], v15 offset:156
	flat_load_dword v12, v[4:5] offset:20
	;; [unrolled: 6-line block ×6, first 2 shown]
	flat_load_dword v21, v[6:7] offset:16
	flat_load_dwordx4 v[12:15], v[8:9] offset:208
	s_nop 0
	flat_load_dwordx4 v[16:19], v[8:9] offset:240
	s_waitcnt vmcnt(0) lgkmcnt(0)
	v_dot4c_i32_i8_e32 v12, v20, v21
	s_nop 2
	flat_store_dword v[8:9], v12 offset:208
	flat_load_dword v12, v[4:5] offset:24
	s_nop 0
	flat_load_dword v20, v[6:7] offset:20
	s_waitcnt vmcnt(0) lgkmcnt(0)
	v_dot4c_i32_i8_e32 v13, v12, v20
	s_nop 2
	flat_store_dword v[8:9], v13 offset:212
	flat_load_dword v12, v[4:5] offset:24
	s_nop 0
	flat_load_dword v13, v[6:7] offset:24
	s_waitcnt vmcnt(0) lgkmcnt(0)
	v_dot4c_i32_i8_e32 v14, v12, v13
	s_nop 2
	flat_store_dword v[8:9], v14 offset:216
	flat_load_dword v12, v[4:5] offset:24
	flat_load_dword v13, v[6:7] offset:28
	s_waitcnt vmcnt(0) lgkmcnt(0)
	v_dot4c_i32_i8_e32 v15, v12, v13
	s_nop 2
	flat_store_dword v[8:9], v15 offset:220
	flat_load_dword v12, v[4:5] offset:28
	flat_load_dword v13, v[6:7] offset:16
	s_waitcnt vmcnt(0) lgkmcnt(0)
	v_dot4c_i32_i8_e32 v16, v12, v13
	s_nop 2
	flat_store_dword v[8:9], v16 offset:240
	flat_load_dword v12, v[4:5] offset:28
	flat_load_dword v13, v[6:7] offset:20
	s_waitcnt vmcnt(0) lgkmcnt(0)
	v_dot4c_i32_i8_e32 v17, v12, v13
	s_nop 2
	flat_store_dword v[8:9], v17 offset:244
	flat_load_dword v12, v[4:5] offset:28
	flat_load_dword v13, v[6:7] offset:24
	s_waitcnt vmcnt(0) lgkmcnt(0)
	v_dot4c_i32_i8_e32 v18, v12, v13
	s_nop 2
	flat_store_dword v[8:9], v18 offset:248
	flat_load_dword v12, v[4:5] offset:28
	flat_load_dword v13, v[6:7] offset:28
	s_waitcnt vmcnt(0) lgkmcnt(0)
	v_dot4c_i32_i8_e32 v19, v12, v13
	s_nop 2
	flat_store_dword v[8:9], v19 offset:252
	flat_load_dword v14, v[0:1] offset:48
	flat_load_dwordx2 v[12:13], v[10:11]
	s_waitcnt vmcnt(0) lgkmcnt(0)
	v_ashrrev_i32_e32 v15, 31, v14
	v_add_co_u32_e32 v12, vcc, v12, v14
	v_addc_co_u32_e32 v13, vcc, v13, v15, vcc
	flat_load_dwordx4 v[12:15], v[12:13] offset:3840
	s_waitcnt vmcnt(0) lgkmcnt(0)
	flat_store_dwordx4 v[6:7], v[12:15] offset:16
	flat_load_dword v14, v[0:1] offset:16
	s_nop 0
	flat_load_dwordx2 v[12:13], v[2:3]
	s_waitcnt vmcnt(0) lgkmcnt(0)
	v_ashrrev_i32_e32 v15, 31, v14
	v_add_co_u32_e32 v16, vcc, v12, v14
	v_addc_co_u32_e32 v17, vcc, v13, v15, vcc
	flat_load_dwordx4 v[12:15], v[16:17] offset:3840
	flat_load_dword v20, v[4:5]
	s_waitcnt vmcnt(0) lgkmcnt(0)
	flat_store_dwordx4 v[4:5], v[12:15] offset:16
	flat_load_dword v21, v[6:7]
	flat_load_dwordx4 v[16:19], v[8:9]
	s_nop 0
	flat_load_dwordx4 v[12:15], v[8:9] offset:16
	s_waitcnt vmcnt(0) lgkmcnt(0)
	v_dot4c_i32_i8_e32 v16, v20, v21
	s_nop 2
	flat_store_dword v[8:9], v16
	flat_load_dword v16, v[4:5]
	s_nop 0
	flat_load_dword v20, v[6:7] offset:4
	s_waitcnt vmcnt(0) lgkmcnt(0)
	v_dot4c_i32_i8_e32 v17, v16, v20
	s_nop 2
	flat_store_dword v[8:9], v17 offset:4
	flat_load_dword v16, v[4:5]
	s_nop 0
	flat_load_dword v17, v[6:7] offset:8
	s_waitcnt vmcnt(0) lgkmcnt(0)
	v_dot4c_i32_i8_e32 v18, v16, v17
	s_nop 2
	flat_store_dword v[8:9], v18 offset:8
	flat_load_dword v16, v[4:5]
	flat_load_dword v17, v[6:7] offset:12
	s_waitcnt vmcnt(0) lgkmcnt(0)
	v_dot4c_i32_i8_e32 v19, v16, v17
	s_nop 2
	flat_store_dword v[8:9], v19 offset:12
	flat_load_dword v24, v[4:5] offset:4
	flat_load_dword v25, v[6:7]
	s_nop 0
	flat_load_dwordx4 v[16:19], v[8:9] offset:32
	flat_load_dwordx4 v[20:23], v[8:9] offset:48
	s_waitcnt vmcnt(0) lgkmcnt(0)
	v_dot4c_i32_i8_e32 v16, v24, v25
	s_nop 2
	flat_store_dword v[8:9], v16 offset:32
	flat_load_dword v16, v[4:5] offset:4
	s_nop 0
	flat_load_dword v24, v[6:7] offset:4
	s_waitcnt vmcnt(0) lgkmcnt(0)
	v_dot4c_i32_i8_e32 v17, v16, v24
	s_nop 2
	flat_store_dword v[8:9], v17 offset:36
	flat_load_dword v16, v[4:5] offset:4
	s_nop 0
	flat_load_dword v17, v[6:7] offset:8
	s_waitcnt vmcnt(0) lgkmcnt(0)
	v_dot4c_i32_i8_e32 v18, v16, v17
	s_nop 2
	flat_store_dword v[8:9], v18 offset:40
	flat_load_dword v16, v[4:5] offset:4
	flat_load_dword v17, v[6:7] offset:12
	s_waitcnt vmcnt(0) lgkmcnt(0)
	v_dot4c_i32_i8_e32 v19, v16, v17
	s_nop 2
	flat_store_dword v[8:9], v19 offset:44
	flat_load_dword v28, v[4:5] offset:8
	flat_load_dword v29, v[6:7]
	s_nop 0
	flat_load_dwordx4 v[16:19], v[8:9] offset:64
	flat_load_dwordx4 v[24:27], v[8:9] offset:80
	s_waitcnt vmcnt(0) lgkmcnt(0)
	v_dot4c_i32_i8_e32 v16, v28, v29
	s_nop 2
	flat_store_dword v[8:9], v16 offset:64
	flat_load_dword v16, v[4:5] offset:8
	s_nop 0
	flat_load_dword v28, v[6:7] offset:4
	s_waitcnt vmcnt(0) lgkmcnt(0)
	v_dot4c_i32_i8_e32 v17, v16, v28
	s_nop 2
	flat_store_dword v[8:9], v17 offset:68
	flat_load_dword v16, v[4:5] offset:8
	s_nop 0
	flat_load_dword v17, v[6:7] offset:8
	s_waitcnt vmcnt(0) lgkmcnt(0)
	v_dot4c_i32_i8_e32 v18, v16, v17
	s_nop 2
	flat_store_dword v[8:9], v18 offset:72
	flat_load_dword v16, v[4:5] offset:8
	;; [unrolled: 29-line block ×3, first 2 shown]
	flat_load_dword v17, v[6:7] offset:12
	s_waitcnt vmcnt(0) lgkmcnt(0)
	v_dot4c_i32_i8_e32 v19, v16, v17
	s_nop 2
	flat_store_dword v[8:9], v19 offset:108
	flat_load_dword v16, v[4:5]
	flat_load_dword v17, v[6:7] offset:16
	s_waitcnt vmcnt(0) lgkmcnt(0)
	v_dot4c_i32_i8_e32 v12, v16, v17
	s_nop 2
	flat_store_dword v[8:9], v12 offset:16
	flat_load_dword v12, v[4:5]
	s_nop 0
	flat_load_dword v16, v[6:7] offset:20
	s_waitcnt vmcnt(0) lgkmcnt(0)
	v_dot4c_i32_i8_e32 v13, v12, v16
	s_nop 2
	flat_store_dword v[8:9], v13 offset:20
	flat_load_dword v12, v[4:5]
	s_nop 0
	flat_load_dword v13, v[6:7] offset:24
	s_waitcnt vmcnt(0) lgkmcnt(0)
	v_dot4c_i32_i8_e32 v14, v12, v13
	s_nop 2
	flat_store_dword v[8:9], v14 offset:24
	flat_load_dword v12, v[4:5]
	flat_load_dword v13, v[6:7] offset:28
	s_waitcnt vmcnt(0) lgkmcnt(0)
	v_dot4c_i32_i8_e32 v15, v12, v13
	s_nop 2
	flat_store_dword v[8:9], v15 offset:28
	flat_load_dword v12, v[4:5] offset:4
	flat_load_dword v13, v[6:7] offset:16
	s_waitcnt vmcnt(0) lgkmcnt(0)
	v_dot4c_i32_i8_e32 v20, v12, v13
	s_nop 2
	flat_store_dword v[8:9], v20 offset:48
	flat_load_dword v12, v[4:5] offset:4
	;; [unrolled: 6-line block ×13, first 2 shown]
	flat_load_dwordx2 v[12:13], v[2:3]
	s_waitcnt vmcnt(0) lgkmcnt(0)
	v_ashrrev_i32_e32 v15, 31, v14
	v_add_co_u32_e32 v12, vcc, v12, v14
	v_addc_co_u32_e32 v13, vcc, v13, v15, vcc
	v_add_co_u32_e32 v16, vcc, s4, v12
	v_addc_co_u32_e32 v17, vcc, 0, v13, vcc
	flat_load_dwordx4 v[12:15], v[16:17]
	flat_load_dword v20, v[4:5] offset:16
	s_waitcnt vmcnt(0) lgkmcnt(0)
	flat_store_dwordx4 v[4:5], v[12:15]
	flat_load_dword v21, v[6:7]
	s_nop 0
	flat_load_dwordx4 v[12:15], v[8:9] offset:128
	flat_load_dwordx4 v[16:19], v[8:9] offset:160
	s_waitcnt vmcnt(0) lgkmcnt(0)
	v_dot4c_i32_i8_e32 v12, v20, v21
	s_nop 2
	flat_store_dword v[8:9], v12 offset:128
	flat_load_dword v12, v[4:5] offset:16
	s_nop 0
	flat_load_dword v20, v[6:7] offset:4
	s_waitcnt vmcnt(0) lgkmcnt(0)
	v_dot4c_i32_i8_e32 v13, v12, v20
	s_nop 2
	flat_store_dword v[8:9], v13 offset:132
	flat_load_dword v12, v[4:5] offset:16
	s_nop 0
	flat_load_dword v13, v[6:7] offset:8
	s_waitcnt vmcnt(0) lgkmcnt(0)
	v_dot4c_i32_i8_e32 v14, v12, v13
	s_nop 2
	flat_store_dword v[8:9], v14 offset:136
	flat_load_dword v12, v[4:5] offset:16
	flat_load_dword v13, v[6:7] offset:12
	s_waitcnt vmcnt(0) lgkmcnt(0)
	v_dot4c_i32_i8_e32 v15, v12, v13
	s_nop 2
	flat_store_dword v[8:9], v15 offset:140
	flat_load_dword v12, v[4:5] offset:20
	flat_load_dword v13, v[6:7]
	s_waitcnt vmcnt(0) lgkmcnt(0)
	v_dot4c_i32_i8_e32 v16, v12, v13
	s_nop 2
	flat_store_dword v[8:9], v16 offset:160
	flat_load_dword v12, v[4:5] offset:20
	flat_load_dword v13, v[6:7] offset:4
	s_waitcnt vmcnt(0) lgkmcnt(0)
	v_dot4c_i32_i8_e32 v17, v12, v13
	s_nop 2
	flat_store_dword v[8:9], v17 offset:164
	flat_load_dword v12, v[4:5] offset:20
	flat_load_dword v13, v[6:7] offset:8
	;; [unrolled: 6-line block ×3, first 2 shown]
	s_waitcnt vmcnt(0) lgkmcnt(0)
	v_dot4c_i32_i8_e32 v19, v12, v13
	s_nop 2
	flat_store_dword v[8:9], v19 offset:172
	flat_load_dword v20, v[4:5] offset:24
	flat_load_dword v21, v[6:7]
	flat_load_dwordx4 v[12:15], v[8:9] offset:192
	s_nop 0
	flat_load_dwordx4 v[16:19], v[8:9] offset:224
	s_waitcnt vmcnt(0) lgkmcnt(0)
	v_dot4c_i32_i8_e32 v12, v20, v21
	s_nop 2
	flat_store_dword v[8:9], v12 offset:192
	flat_load_dword v12, v[4:5] offset:24
	s_nop 0
	flat_load_dword v20, v[6:7] offset:4
	s_waitcnt vmcnt(0) lgkmcnt(0)
	v_dot4c_i32_i8_e32 v13, v12, v20
	s_nop 2
	flat_store_dword v[8:9], v13 offset:196
	flat_load_dword v12, v[4:5] offset:24
	s_nop 0
	flat_load_dword v13, v[6:7] offset:8
	s_waitcnt vmcnt(0) lgkmcnt(0)
	v_dot4c_i32_i8_e32 v14, v12, v13
	s_nop 2
	flat_store_dword v[8:9], v14 offset:200
	flat_load_dword v12, v[4:5] offset:24
	flat_load_dword v13, v[6:7] offset:12
	s_waitcnt vmcnt(0) lgkmcnt(0)
	v_dot4c_i32_i8_e32 v15, v12, v13
	s_nop 2
	flat_store_dword v[8:9], v15 offset:204
	flat_load_dword v12, v[4:5] offset:28
	flat_load_dword v13, v[6:7]
	s_waitcnt vmcnt(0) lgkmcnt(0)
	v_dot4c_i32_i8_e32 v16, v12, v13
	s_nop 2
	flat_store_dword v[8:9], v16 offset:224
	flat_load_dword v12, v[4:5] offset:28
	flat_load_dword v13, v[6:7] offset:4
	s_waitcnt vmcnt(0) lgkmcnt(0)
	v_dot4c_i32_i8_e32 v17, v12, v13
	s_nop 2
	flat_store_dword v[8:9], v17 offset:228
	flat_load_dword v12, v[4:5] offset:28
	flat_load_dword v13, v[6:7] offset:8
	;; [unrolled: 6-line block ×3, first 2 shown]
	s_waitcnt vmcnt(0) lgkmcnt(0)
	v_dot4c_i32_i8_e32 v19, v12, v13
	s_nop 2
	flat_store_dword v[8:9], v19 offset:236
	flat_load_dword v14, v[0:1] offset:48
	flat_load_dwordx2 v[12:13], v[10:11]
	s_waitcnt vmcnt(0) lgkmcnt(0)
	v_ashrrev_i32_e32 v15, 31, v14
	v_add_co_u32_e32 v12, vcc, v12, v14
	v_addc_co_u32_e32 v13, vcc, v13, v15, vcc
	v_add_co_u32_e32 v16, vcc, s4, v12
	v_addc_co_u32_e32 v17, vcc, 0, v13, vcc
	flat_load_dwordx4 v[12:15], v[16:17]
	flat_load_dword v20, v[6:7] offset:16
	s_waitcnt vmcnt(0) lgkmcnt(0)
	flat_store_dwordx4 v[6:7], v[12:15]
	flat_load_dword v21, v[4:5] offset:16
	s_nop 0
	flat_load_dwordx4 v[12:15], v[8:9] offset:144
	flat_load_dwordx4 v[16:19], v[8:9] offset:176
	s_waitcnt vmcnt(0) lgkmcnt(0)
	v_dot4c_i32_i8_e32 v12, v21, v20
	s_nop 2
	flat_store_dword v[8:9], v12 offset:144
	flat_load_dword v12, v[4:5] offset:16
	s_nop 0
	flat_load_dword v20, v[6:7] offset:20
	s_waitcnt vmcnt(0) lgkmcnt(0)
	v_dot4c_i32_i8_e32 v13, v12, v20
	s_nop 2
	flat_store_dword v[8:9], v13 offset:148
	flat_load_dword v12, v[4:5] offset:16
	s_nop 0
	flat_load_dword v13, v[6:7] offset:24
	s_waitcnt vmcnt(0) lgkmcnt(0)
	v_dot4c_i32_i8_e32 v14, v12, v13
	s_nop 2
	flat_store_dword v[8:9], v14 offset:152
	flat_load_dword v12, v[4:5] offset:16
	flat_load_dword v13, v[6:7] offset:28
	s_waitcnt vmcnt(0) lgkmcnt(0)
	v_dot4c_i32_i8_e32 v15, v12, v13
	s_nop 2
	flat_store_dword v[8:9], v15 offset:156
	flat_load_dword v12, v[4:5] offset:20
	;; [unrolled: 6-line block ×6, first 2 shown]
	flat_load_dword v21, v[6:7] offset:16
	flat_load_dwordx4 v[12:15], v[8:9] offset:208
	s_nop 0
	flat_load_dwordx4 v[16:19], v[8:9] offset:240
	s_waitcnt vmcnt(0) lgkmcnt(0)
	v_dot4c_i32_i8_e32 v12, v20, v21
	s_nop 2
	flat_store_dword v[8:9], v12 offset:208
	flat_load_dword v12, v[4:5] offset:24
	s_nop 0
	flat_load_dword v20, v[6:7] offset:20
	s_waitcnt vmcnt(0) lgkmcnt(0)
	v_dot4c_i32_i8_e32 v13, v12, v20
	s_nop 2
	flat_store_dword v[8:9], v13 offset:212
	flat_load_dword v12, v[4:5] offset:24
	s_nop 0
	flat_load_dword v13, v[6:7] offset:24
	s_waitcnt vmcnt(0) lgkmcnt(0)
	v_dot4c_i32_i8_e32 v14, v12, v13
	s_nop 2
	flat_store_dword v[8:9], v14 offset:216
	flat_load_dword v12, v[4:5] offset:24
	flat_load_dword v13, v[6:7] offset:28
	s_waitcnt vmcnt(0) lgkmcnt(0)
	v_dot4c_i32_i8_e32 v15, v12, v13
	s_nop 2
	flat_store_dword v[8:9], v15 offset:220
	flat_load_dword v12, v[4:5] offset:28
	;; [unrolled: 6-line block ×6, first 2 shown]
	flat_load_dwordx2 v[12:13], v[10:11]
	s_waitcnt vmcnt(0) lgkmcnt(0)
	v_ashrrev_i32_e32 v15, 31, v14
	v_add_co_u32_e32 v12, vcc, v12, v14
	v_addc_co_u32_e32 v13, vcc, v13, v15, vcc
	v_add_co_u32_e32 v12, vcc, s4, v12
	v_addc_co_u32_e32 v13, vcc, 0, v13, vcc
	flat_load_dwordx4 v[12:15], v[12:13] offset:256
	s_waitcnt vmcnt(0) lgkmcnt(0)
	flat_store_dwordx4 v[6:7], v[12:15] offset:16
	flat_load_dword v14, v[0:1] offset:16
	s_nop 0
	flat_load_dwordx2 v[12:13], v[2:3]
	s_waitcnt vmcnt(0) lgkmcnt(0)
	v_ashrrev_i32_e32 v15, 31, v14
	v_add_co_u32_e32 v12, vcc, v12, v14
	v_addc_co_u32_e32 v13, vcc, v13, v15, vcc
	v_add_co_u32_e32 v16, vcc, s4, v12
	v_addc_co_u32_e32 v17, vcc, 0, v13, vcc
	flat_load_dwordx4 v[12:15], v[16:17] offset:256
	flat_load_dword v20, v[4:5]
	s_waitcnt vmcnt(0) lgkmcnt(0)
	flat_store_dwordx4 v[4:5], v[12:15] offset:16
	flat_load_dword v21, v[6:7]
	flat_load_dwordx4 v[16:19], v[8:9]
	s_nop 0
	flat_load_dwordx4 v[12:15], v[8:9] offset:16
	s_waitcnt vmcnt(0) lgkmcnt(0)
	v_dot4c_i32_i8_e32 v16, v20, v21
	s_nop 2
	flat_store_dword v[8:9], v16
	flat_load_dword v16, v[4:5]
	s_nop 0
	flat_load_dword v20, v[6:7] offset:4
	s_waitcnt vmcnt(0) lgkmcnt(0)
	v_dot4c_i32_i8_e32 v17, v16, v20
	s_nop 2
	flat_store_dword v[8:9], v17 offset:4
	flat_load_dword v16, v[4:5]
	s_nop 0
	flat_load_dword v17, v[6:7] offset:8
	s_waitcnt vmcnt(0) lgkmcnt(0)
	v_dot4c_i32_i8_e32 v18, v16, v17
	s_nop 2
	flat_store_dword v[8:9], v18 offset:8
	flat_load_dword v16, v[4:5]
	flat_load_dword v17, v[6:7] offset:12
	s_waitcnt vmcnt(0) lgkmcnt(0)
	v_dot4c_i32_i8_e32 v19, v16, v17
	s_nop 2
	flat_store_dword v[8:9], v19 offset:12
	flat_load_dword v24, v[4:5] offset:4
	flat_load_dword v25, v[6:7]
	s_nop 0
	flat_load_dwordx4 v[16:19], v[8:9] offset:32
	flat_load_dwordx4 v[20:23], v[8:9] offset:48
	s_waitcnt vmcnt(0) lgkmcnt(0)
	v_dot4c_i32_i8_e32 v16, v24, v25
	s_nop 2
	flat_store_dword v[8:9], v16 offset:32
	flat_load_dword v16, v[4:5] offset:4
	s_nop 0
	flat_load_dword v24, v[6:7] offset:4
	s_waitcnt vmcnt(0) lgkmcnt(0)
	v_dot4c_i32_i8_e32 v17, v16, v24
	s_nop 2
	flat_store_dword v[8:9], v17 offset:36
	flat_load_dword v16, v[4:5] offset:4
	s_nop 0
	flat_load_dword v17, v[6:7] offset:8
	s_waitcnt vmcnt(0) lgkmcnt(0)
	v_dot4c_i32_i8_e32 v18, v16, v17
	s_nop 2
	flat_store_dword v[8:9], v18 offset:40
	flat_load_dword v16, v[4:5] offset:4
	flat_load_dword v17, v[6:7] offset:12
	s_waitcnt vmcnt(0) lgkmcnt(0)
	v_dot4c_i32_i8_e32 v19, v16, v17
	s_nop 2
	flat_store_dword v[8:9], v19 offset:44
	flat_load_dword v28, v[4:5] offset:8
	flat_load_dword v29, v[6:7]
	s_nop 0
	flat_load_dwordx4 v[16:19], v[8:9] offset:64
	flat_load_dwordx4 v[24:27], v[8:9] offset:80
	s_waitcnt vmcnt(0) lgkmcnt(0)
	v_dot4c_i32_i8_e32 v16, v28, v29
	s_nop 2
	flat_store_dword v[8:9], v16 offset:64
	flat_load_dword v16, v[4:5] offset:8
	s_nop 0
	flat_load_dword v28, v[6:7] offset:4
	s_waitcnt vmcnt(0) lgkmcnt(0)
	v_dot4c_i32_i8_e32 v17, v16, v28
	s_nop 2
	flat_store_dword v[8:9], v17 offset:68
	flat_load_dword v16, v[4:5] offset:8
	s_nop 0
	flat_load_dword v17, v[6:7] offset:8
	s_waitcnt vmcnt(0) lgkmcnt(0)
	v_dot4c_i32_i8_e32 v18, v16, v17
	s_nop 2
	flat_store_dword v[8:9], v18 offset:72
	flat_load_dword v16, v[4:5] offset:8
	;; [unrolled: 29-line block ×3, first 2 shown]
	flat_load_dword v17, v[6:7] offset:12
	s_waitcnt vmcnt(0) lgkmcnt(0)
	v_dot4c_i32_i8_e32 v19, v16, v17
	s_nop 2
	flat_store_dword v[8:9], v19 offset:108
	flat_load_dword v16, v[4:5]
	flat_load_dword v17, v[6:7] offset:16
	s_waitcnt vmcnt(0) lgkmcnt(0)
	v_dot4c_i32_i8_e32 v12, v16, v17
	s_nop 2
	flat_store_dword v[8:9], v12 offset:16
	flat_load_dword v12, v[4:5]
	s_nop 0
	flat_load_dword v16, v[6:7] offset:20
	s_waitcnt vmcnt(0) lgkmcnt(0)
	v_dot4c_i32_i8_e32 v13, v12, v16
	s_nop 2
	flat_store_dword v[8:9], v13 offset:20
	flat_load_dword v12, v[4:5]
	s_nop 0
	flat_load_dword v13, v[6:7] offset:24
	s_waitcnt vmcnt(0) lgkmcnt(0)
	v_dot4c_i32_i8_e32 v14, v12, v13
	s_nop 2
	flat_store_dword v[8:9], v14 offset:24
	flat_load_dword v12, v[4:5]
	flat_load_dword v13, v[6:7] offset:28
	s_waitcnt vmcnt(0) lgkmcnt(0)
	v_dot4c_i32_i8_e32 v15, v12, v13
	s_nop 2
	flat_store_dword v[8:9], v15 offset:28
	flat_load_dword v12, v[4:5] offset:4
	flat_load_dword v13, v[6:7] offset:16
	s_waitcnt vmcnt(0) lgkmcnt(0)
	v_dot4c_i32_i8_e32 v20, v12, v13
	s_nop 2
	flat_store_dword v[8:9], v20 offset:48
	flat_load_dword v12, v[4:5] offset:4
	;; [unrolled: 6-line block ×13, first 2 shown]
	flat_load_dwordx2 v[12:13], v[2:3]
	s_waitcnt vmcnt(0) lgkmcnt(0)
	v_ashrrev_i32_e32 v15, 31, v14
	v_add_co_u32_e32 v12, vcc, v12, v14
	v_addc_co_u32_e32 v13, vcc, v13, v15, vcc
	v_add_co_u32_e32 v16, vcc, s4, v12
	v_addc_co_u32_e32 v17, vcc, 0, v13, vcc
	flat_load_dwordx4 v[12:15], v[16:17] offset:512
	flat_load_dword v20, v[4:5] offset:16
	s_waitcnt vmcnt(0) lgkmcnt(0)
	flat_store_dwordx4 v[4:5], v[12:15]
	flat_load_dword v21, v[6:7]
	s_nop 0
	flat_load_dwordx4 v[12:15], v[8:9] offset:128
	flat_load_dwordx4 v[16:19], v[8:9] offset:160
	s_waitcnt vmcnt(0) lgkmcnt(0)
	v_dot4c_i32_i8_e32 v12, v20, v21
	s_nop 2
	flat_store_dword v[8:9], v12 offset:128
	flat_load_dword v12, v[4:5] offset:16
	s_nop 0
	flat_load_dword v20, v[6:7] offset:4
	s_waitcnt vmcnt(0) lgkmcnt(0)
	v_dot4c_i32_i8_e32 v13, v12, v20
	s_nop 2
	flat_store_dword v[8:9], v13 offset:132
	flat_load_dword v12, v[4:5] offset:16
	s_nop 0
	flat_load_dword v13, v[6:7] offset:8
	s_waitcnt vmcnt(0) lgkmcnt(0)
	v_dot4c_i32_i8_e32 v14, v12, v13
	s_nop 2
	flat_store_dword v[8:9], v14 offset:136
	flat_load_dword v12, v[4:5] offset:16
	flat_load_dword v13, v[6:7] offset:12
	s_waitcnt vmcnt(0) lgkmcnt(0)
	v_dot4c_i32_i8_e32 v15, v12, v13
	s_nop 2
	flat_store_dword v[8:9], v15 offset:140
	flat_load_dword v12, v[4:5] offset:20
	flat_load_dword v13, v[6:7]
	s_waitcnt vmcnt(0) lgkmcnt(0)
	v_dot4c_i32_i8_e32 v16, v12, v13
	s_nop 2
	flat_store_dword v[8:9], v16 offset:160
	flat_load_dword v12, v[4:5] offset:20
	flat_load_dword v13, v[6:7] offset:4
	s_waitcnt vmcnt(0) lgkmcnt(0)
	v_dot4c_i32_i8_e32 v17, v12, v13
	s_nop 2
	flat_store_dword v[8:9], v17 offset:164
	flat_load_dword v12, v[4:5] offset:20
	flat_load_dword v13, v[6:7] offset:8
	;; [unrolled: 6-line block ×3, first 2 shown]
	s_waitcnt vmcnt(0) lgkmcnt(0)
	v_dot4c_i32_i8_e32 v19, v12, v13
	s_nop 2
	flat_store_dword v[8:9], v19 offset:172
	flat_load_dword v20, v[4:5] offset:24
	flat_load_dword v21, v[6:7]
	flat_load_dwordx4 v[12:15], v[8:9] offset:192
	s_nop 0
	flat_load_dwordx4 v[16:19], v[8:9] offset:224
	s_waitcnt vmcnt(0) lgkmcnt(0)
	v_dot4c_i32_i8_e32 v12, v20, v21
	s_nop 2
	flat_store_dword v[8:9], v12 offset:192
	flat_load_dword v12, v[4:5] offset:24
	s_nop 0
	flat_load_dword v20, v[6:7] offset:4
	s_waitcnt vmcnt(0) lgkmcnt(0)
	v_dot4c_i32_i8_e32 v13, v12, v20
	s_nop 2
	flat_store_dword v[8:9], v13 offset:196
	flat_load_dword v12, v[4:5] offset:24
	s_nop 0
	flat_load_dword v13, v[6:7] offset:8
	s_waitcnt vmcnt(0) lgkmcnt(0)
	v_dot4c_i32_i8_e32 v14, v12, v13
	s_nop 2
	flat_store_dword v[8:9], v14 offset:200
	flat_load_dword v12, v[4:5] offset:24
	flat_load_dword v13, v[6:7] offset:12
	s_waitcnt vmcnt(0) lgkmcnt(0)
	v_dot4c_i32_i8_e32 v15, v12, v13
	s_nop 2
	flat_store_dword v[8:9], v15 offset:204
	flat_load_dword v12, v[4:5] offset:28
	flat_load_dword v13, v[6:7]
	s_waitcnt vmcnt(0) lgkmcnt(0)
	v_dot4c_i32_i8_e32 v16, v12, v13
	s_nop 2
	flat_store_dword v[8:9], v16 offset:224
	flat_load_dword v12, v[4:5] offset:28
	flat_load_dword v13, v[6:7] offset:4
	s_waitcnt vmcnt(0) lgkmcnt(0)
	v_dot4c_i32_i8_e32 v17, v12, v13
	s_nop 2
	flat_store_dword v[8:9], v17 offset:228
	flat_load_dword v12, v[4:5] offset:28
	flat_load_dword v13, v[6:7] offset:8
	;; [unrolled: 6-line block ×3, first 2 shown]
	s_waitcnt vmcnt(0) lgkmcnt(0)
	v_dot4c_i32_i8_e32 v19, v12, v13
	s_nop 2
	flat_store_dword v[8:9], v19 offset:236
	flat_load_dword v14, v[0:1] offset:48
	flat_load_dwordx2 v[12:13], v[10:11]
	s_waitcnt vmcnt(0) lgkmcnt(0)
	v_ashrrev_i32_e32 v15, 31, v14
	v_add_co_u32_e32 v12, vcc, v12, v14
	v_addc_co_u32_e32 v13, vcc, v13, v15, vcc
	v_add_co_u32_e32 v16, vcc, s4, v12
	v_addc_co_u32_e32 v17, vcc, 0, v13, vcc
	flat_load_dwordx4 v[12:15], v[16:17] offset:512
	flat_load_dword v18, v[6:7] offset:16
	s_waitcnt vmcnt(0) lgkmcnt(0)
	flat_store_dwordx4 v[6:7], v[12:15]
	flat_load_dword v16, v[4:5] offset:16
	s_nop 0
	flat_load_dwordx4 v[12:15], v[8:9] offset:144
	s_waitcnt vmcnt(0) lgkmcnt(0)
	v_dot4c_i32_i8_e32 v12, v16, v18
	s_nop 2
	flat_store_dword v[8:9], v12 offset:144
	flat_load_dword v12, v[4:5] offset:16
	s_nop 0
	flat_load_dword v16, v[6:7] offset:20
	s_waitcnt vmcnt(0) lgkmcnt(0)
	v_dot4c_i32_i8_e32 v13, v12, v16
	s_nop 2
	flat_store_dword v[8:9], v13 offset:148
	flat_load_dword v12, v[4:5] offset:16
	s_nop 0
	flat_load_dword v13, v[6:7] offset:24
	flat_load_dwordx4 v[16:19], v[8:9] offset:176
	s_waitcnt vmcnt(0) lgkmcnt(0)
	v_dot4c_i32_i8_e32 v14, v12, v13
	s_nop 2
	flat_store_dword v[8:9], v14 offset:152
	flat_load_dword v12, v[4:5] offset:16
	flat_load_dword v13, v[6:7] offset:28
	s_waitcnt vmcnt(0) lgkmcnt(0)
	v_dot4c_i32_i8_e32 v15, v12, v13
	s_nop 2
	flat_store_dword v[8:9], v15 offset:156
	flat_load_dword v12, v[4:5] offset:20
	flat_load_dword v13, v[6:7] offset:16
	;; [unrolled: 6-line block ×6, first 2 shown]
	flat_load_dwordx4 v[12:15], v[8:9] offset:208
	s_nop 0
	flat_load_dwordx4 v[16:19], v[8:9] offset:240
	s_waitcnt vmcnt(0) lgkmcnt(0)
	v_dot4c_i32_i8_e32 v12, v20, v21
	s_nop 2
	flat_store_dword v[8:9], v12 offset:208
	flat_load_dword v12, v[4:5] offset:24
	s_nop 0
	flat_load_dword v20, v[6:7] offset:20
	s_waitcnt vmcnt(0) lgkmcnt(0)
	v_dot4c_i32_i8_e32 v13, v12, v20
	s_nop 2
	flat_store_dword v[8:9], v13 offset:212
	flat_load_dword v12, v[4:5] offset:24
	s_nop 0
	flat_load_dword v13, v[6:7] offset:24
	s_waitcnt vmcnt(0) lgkmcnt(0)
	v_dot4c_i32_i8_e32 v14, v12, v13
	s_nop 2
	flat_store_dword v[8:9], v14 offset:216
	flat_load_dword v12, v[4:5] offset:24
	flat_load_dword v13, v[6:7] offset:28
	s_waitcnt vmcnt(0) lgkmcnt(0)
	v_dot4c_i32_i8_e32 v15, v12, v13
	s_nop 2
	flat_store_dword v[8:9], v15 offset:220
	flat_load_dword v12, v[4:5] offset:28
	;; [unrolled: 6-line block ×6, first 2 shown]
	flat_load_dwordx2 v[12:13], v[10:11]
	s_waitcnt vmcnt(0) lgkmcnt(0)
	v_ashrrev_i32_e32 v15, 31, v14
	v_add_co_u32_e32 v12, vcc, v12, v14
	v_addc_co_u32_e32 v13, vcc, v13, v15, vcc
	v_add_co_u32_e32 v12, vcc, s4, v12
	v_addc_co_u32_e32 v13, vcc, 0, v13, vcc
	flat_load_dwordx4 v[12:15], v[12:13] offset:768
	s_waitcnt vmcnt(0) lgkmcnt(0)
	flat_store_dwordx4 v[6:7], v[12:15] offset:16
	flat_load_dword v14, v[0:1] offset:16
	s_nop 0
	flat_load_dwordx2 v[12:13], v[2:3]
	s_waitcnt vmcnt(0) lgkmcnt(0)
	v_ashrrev_i32_e32 v15, 31, v14
	v_add_co_u32_e32 v12, vcc, v12, v14
	v_addc_co_u32_e32 v13, vcc, v13, v15, vcc
	v_add_co_u32_e32 v16, vcc, s4, v12
	v_addc_co_u32_e32 v17, vcc, 0, v13, vcc
	flat_load_dwordx4 v[12:15], v[16:17] offset:768
	flat_load_dword v20, v[4:5]
	s_waitcnt vmcnt(0) lgkmcnt(0)
	flat_store_dwordx4 v[4:5], v[12:15] offset:16
	flat_load_dword v21, v[6:7]
	flat_load_dwordx4 v[16:19], v[8:9]
	s_nop 0
	flat_load_dwordx4 v[12:15], v[8:9] offset:16
	s_waitcnt vmcnt(0) lgkmcnt(0)
	v_dot4c_i32_i8_e32 v16, v20, v21
	s_nop 2
	flat_store_dword v[8:9], v16
	flat_load_dword v16, v[4:5]
	s_nop 0
	flat_load_dword v20, v[6:7] offset:4
	s_waitcnt vmcnt(0) lgkmcnt(0)
	v_dot4c_i32_i8_e32 v17, v16, v20
	s_nop 2
	flat_store_dword v[8:9], v17 offset:4
	flat_load_dword v16, v[4:5]
	s_nop 0
	flat_load_dword v17, v[6:7] offset:8
	s_waitcnt vmcnt(0) lgkmcnt(0)
	v_dot4c_i32_i8_e32 v18, v16, v17
	s_nop 2
	flat_store_dword v[8:9], v18 offset:8
	flat_load_dword v16, v[4:5]
	flat_load_dword v17, v[6:7] offset:12
	s_waitcnt vmcnt(0) lgkmcnt(0)
	v_dot4c_i32_i8_e32 v19, v16, v17
	s_nop 2
	flat_store_dword v[8:9], v19 offset:12
	flat_load_dword v24, v[4:5] offset:4
	flat_load_dword v25, v[6:7]
	s_nop 0
	flat_load_dwordx4 v[16:19], v[8:9] offset:32
	flat_load_dwordx4 v[20:23], v[8:9] offset:48
	s_waitcnt vmcnt(0) lgkmcnt(0)
	v_dot4c_i32_i8_e32 v16, v24, v25
	s_nop 2
	flat_store_dword v[8:9], v16 offset:32
	flat_load_dword v16, v[4:5] offset:4
	s_nop 0
	flat_load_dword v24, v[6:7] offset:4
	s_waitcnt vmcnt(0) lgkmcnt(0)
	v_dot4c_i32_i8_e32 v17, v16, v24
	s_nop 2
	flat_store_dword v[8:9], v17 offset:36
	flat_load_dword v16, v[4:5] offset:4
	s_nop 0
	flat_load_dword v17, v[6:7] offset:8
	s_waitcnt vmcnt(0) lgkmcnt(0)
	v_dot4c_i32_i8_e32 v18, v16, v17
	s_nop 2
	flat_store_dword v[8:9], v18 offset:40
	flat_load_dword v16, v[4:5] offset:4
	flat_load_dword v17, v[6:7] offset:12
	s_waitcnt vmcnt(0) lgkmcnt(0)
	v_dot4c_i32_i8_e32 v19, v16, v17
	s_nop 2
	flat_store_dword v[8:9], v19 offset:44
	flat_load_dword v28, v[4:5] offset:8
	flat_load_dword v29, v[6:7]
	s_nop 0
	flat_load_dwordx4 v[16:19], v[8:9] offset:64
	flat_load_dwordx4 v[24:27], v[8:9] offset:80
	s_waitcnt vmcnt(0) lgkmcnt(0)
	v_dot4c_i32_i8_e32 v16, v28, v29
	s_nop 2
	flat_store_dword v[8:9], v16 offset:64
	flat_load_dword v16, v[4:5] offset:8
	s_nop 0
	flat_load_dword v28, v[6:7] offset:4
	s_waitcnt vmcnt(0) lgkmcnt(0)
	v_dot4c_i32_i8_e32 v17, v16, v28
	s_nop 2
	flat_store_dword v[8:9], v17 offset:68
	flat_load_dword v16, v[4:5] offset:8
	s_nop 0
	flat_load_dword v17, v[6:7] offset:8
	s_waitcnt vmcnt(0) lgkmcnt(0)
	v_dot4c_i32_i8_e32 v18, v16, v17
	s_nop 2
	flat_store_dword v[8:9], v18 offset:72
	flat_load_dword v16, v[4:5] offset:8
	;; [unrolled: 29-line block ×3, first 2 shown]
	flat_load_dword v17, v[6:7] offset:12
	s_waitcnt vmcnt(0) lgkmcnt(0)
	v_dot4c_i32_i8_e32 v19, v16, v17
	s_nop 2
	flat_store_dword v[8:9], v19 offset:108
	flat_load_dword v16, v[4:5]
	flat_load_dword v17, v[6:7] offset:16
	s_waitcnt vmcnt(0) lgkmcnt(0)
	v_dot4c_i32_i8_e32 v12, v16, v17
	s_nop 2
	flat_store_dword v[8:9], v12 offset:16
	flat_load_dword v12, v[4:5]
	s_nop 0
	flat_load_dword v16, v[6:7] offset:20
	s_waitcnt vmcnt(0) lgkmcnt(0)
	v_dot4c_i32_i8_e32 v13, v12, v16
	s_nop 2
	flat_store_dword v[8:9], v13 offset:20
	flat_load_dword v12, v[4:5]
	s_nop 0
	flat_load_dword v13, v[6:7] offset:24
	s_waitcnt vmcnt(0) lgkmcnt(0)
	v_dot4c_i32_i8_e32 v14, v12, v13
	s_nop 2
	flat_store_dword v[8:9], v14 offset:24
	flat_load_dword v12, v[4:5]
	flat_load_dword v13, v[6:7] offset:28
	s_waitcnt vmcnt(0) lgkmcnt(0)
	v_dot4c_i32_i8_e32 v15, v12, v13
	s_nop 2
	flat_store_dword v[8:9], v15 offset:28
	flat_load_dword v12, v[4:5] offset:4
	flat_load_dword v13, v[6:7] offset:16
	s_waitcnt vmcnt(0) lgkmcnt(0)
	v_dot4c_i32_i8_e32 v20, v12, v13
	s_nop 2
	flat_store_dword v[8:9], v20 offset:48
	flat_load_dword v12, v[4:5] offset:4
	;; [unrolled: 6-line block ×13, first 2 shown]
	flat_load_dwordx2 v[12:13], v[2:3]
	s_waitcnt vmcnt(0) lgkmcnt(0)
	v_ashrrev_i32_e32 v15, 31, v14
	v_add_co_u32_e32 v12, vcc, v12, v14
	v_addc_co_u32_e32 v13, vcc, v13, v15, vcc
	v_add_co_u32_e32 v16, vcc, s4, v12
	v_addc_co_u32_e32 v17, vcc, 0, v13, vcc
	flat_load_dwordx4 v[12:15], v[16:17] offset:1024
	flat_load_dword v20, v[4:5] offset:16
	s_waitcnt vmcnt(0) lgkmcnt(0)
	flat_store_dwordx4 v[4:5], v[12:15]
	flat_load_dword v21, v[6:7]
	s_nop 0
	flat_load_dwordx4 v[12:15], v[8:9] offset:128
	flat_load_dwordx4 v[16:19], v[8:9] offset:160
	s_waitcnt vmcnt(0) lgkmcnt(0)
	v_dot4c_i32_i8_e32 v12, v20, v21
	s_nop 2
	flat_store_dword v[8:9], v12 offset:128
	flat_load_dword v12, v[4:5] offset:16
	s_nop 0
	flat_load_dword v20, v[6:7] offset:4
	s_waitcnt vmcnt(0) lgkmcnt(0)
	v_dot4c_i32_i8_e32 v13, v12, v20
	s_nop 2
	flat_store_dword v[8:9], v13 offset:132
	flat_load_dword v12, v[4:5] offset:16
	s_nop 0
	flat_load_dword v13, v[6:7] offset:8
	s_waitcnt vmcnt(0) lgkmcnt(0)
	v_dot4c_i32_i8_e32 v14, v12, v13
	s_nop 2
	flat_store_dword v[8:9], v14 offset:136
	flat_load_dword v12, v[4:5] offset:16
	flat_load_dword v13, v[6:7] offset:12
	s_waitcnt vmcnt(0) lgkmcnt(0)
	v_dot4c_i32_i8_e32 v15, v12, v13
	s_nop 2
	flat_store_dword v[8:9], v15 offset:140
	flat_load_dword v12, v[4:5] offset:20
	flat_load_dword v13, v[6:7]
	s_waitcnt vmcnt(0) lgkmcnt(0)
	v_dot4c_i32_i8_e32 v16, v12, v13
	s_nop 2
	flat_store_dword v[8:9], v16 offset:160
	flat_load_dword v12, v[4:5] offset:20
	flat_load_dword v13, v[6:7] offset:4
	s_waitcnt vmcnt(0) lgkmcnt(0)
	v_dot4c_i32_i8_e32 v17, v12, v13
	s_nop 2
	flat_store_dword v[8:9], v17 offset:164
	flat_load_dword v12, v[4:5] offset:20
	flat_load_dword v13, v[6:7] offset:8
	;; [unrolled: 6-line block ×3, first 2 shown]
	s_waitcnt vmcnt(0) lgkmcnt(0)
	v_dot4c_i32_i8_e32 v19, v12, v13
	s_nop 2
	flat_store_dword v[8:9], v19 offset:172
	flat_load_dword v20, v[4:5] offset:24
	flat_load_dword v21, v[6:7]
	flat_load_dwordx4 v[12:15], v[8:9] offset:192
	s_nop 0
	flat_load_dwordx4 v[16:19], v[8:9] offset:224
	s_waitcnt vmcnt(0) lgkmcnt(0)
	v_dot4c_i32_i8_e32 v12, v20, v21
	s_nop 2
	flat_store_dword v[8:9], v12 offset:192
	flat_load_dword v12, v[4:5] offset:24
	s_nop 0
	flat_load_dword v20, v[6:7] offset:4
	s_waitcnt vmcnt(0) lgkmcnt(0)
	v_dot4c_i32_i8_e32 v13, v12, v20
	s_nop 2
	flat_store_dword v[8:9], v13 offset:196
	flat_load_dword v12, v[4:5] offset:24
	s_nop 0
	flat_load_dword v13, v[6:7] offset:8
	s_waitcnt vmcnt(0) lgkmcnt(0)
	v_dot4c_i32_i8_e32 v14, v12, v13
	s_nop 2
	flat_store_dword v[8:9], v14 offset:200
	flat_load_dword v12, v[4:5] offset:24
	flat_load_dword v13, v[6:7] offset:12
	s_waitcnt vmcnt(0) lgkmcnt(0)
	v_dot4c_i32_i8_e32 v15, v12, v13
	s_nop 2
	flat_store_dword v[8:9], v15 offset:204
	flat_load_dword v12, v[4:5] offset:28
	flat_load_dword v13, v[6:7]
	s_waitcnt vmcnt(0) lgkmcnt(0)
	v_dot4c_i32_i8_e32 v16, v12, v13
	s_nop 2
	flat_store_dword v[8:9], v16 offset:224
	flat_load_dword v12, v[4:5] offset:28
	flat_load_dword v13, v[6:7] offset:4
	s_waitcnt vmcnt(0) lgkmcnt(0)
	v_dot4c_i32_i8_e32 v17, v12, v13
	s_nop 2
	flat_store_dword v[8:9], v17 offset:228
	flat_load_dword v12, v[4:5] offset:28
	flat_load_dword v13, v[6:7] offset:8
	;; [unrolled: 6-line block ×3, first 2 shown]
	s_waitcnt vmcnt(0) lgkmcnt(0)
	v_dot4c_i32_i8_e32 v19, v12, v13
	s_nop 2
	flat_store_dword v[8:9], v19 offset:236
	flat_load_dword v14, v[0:1] offset:48
	flat_load_dwordx2 v[12:13], v[10:11]
	s_waitcnt vmcnt(0) lgkmcnt(0)
	v_ashrrev_i32_e32 v15, 31, v14
	v_add_co_u32_e32 v12, vcc, v12, v14
	v_addc_co_u32_e32 v13, vcc, v13, v15, vcc
	v_add_co_u32_e32 v16, vcc, s4, v12
	v_addc_co_u32_e32 v17, vcc, 0, v13, vcc
	flat_load_dwordx4 v[12:15], v[16:17] offset:1024
	flat_load_dword v20, v[6:7] offset:16
	s_waitcnt vmcnt(0) lgkmcnt(0)
	flat_store_dwordx4 v[6:7], v[12:15]
	flat_load_dword v21, v[4:5] offset:16
	s_nop 0
	flat_load_dwordx4 v[12:15], v[8:9] offset:144
	flat_load_dwordx4 v[16:19], v[8:9] offset:176
	s_waitcnt vmcnt(0) lgkmcnt(0)
	v_dot4c_i32_i8_e32 v12, v21, v20
	s_nop 2
	flat_store_dword v[8:9], v12 offset:144
	flat_load_dword v12, v[4:5] offset:16
	s_nop 0
	flat_load_dword v20, v[6:7] offset:20
	s_waitcnt vmcnt(0) lgkmcnt(0)
	v_dot4c_i32_i8_e32 v13, v12, v20
	s_nop 2
	flat_store_dword v[8:9], v13 offset:148
	flat_load_dword v12, v[4:5] offset:16
	s_nop 0
	flat_load_dword v13, v[6:7] offset:24
	s_waitcnt vmcnt(0) lgkmcnt(0)
	v_dot4c_i32_i8_e32 v14, v12, v13
	s_nop 2
	flat_store_dword v[8:9], v14 offset:152
	flat_load_dword v12, v[4:5] offset:16
	flat_load_dword v13, v[6:7] offset:28
	s_waitcnt vmcnt(0) lgkmcnt(0)
	v_dot4c_i32_i8_e32 v15, v12, v13
	s_nop 2
	flat_store_dword v[8:9], v15 offset:156
	flat_load_dword v12, v[4:5] offset:20
	;; [unrolled: 6-line block ×6, first 2 shown]
	flat_load_dword v21, v[6:7] offset:16
	flat_load_dwordx4 v[12:15], v[8:9] offset:208
	s_nop 0
	flat_load_dwordx4 v[16:19], v[8:9] offset:240
	s_waitcnt vmcnt(0) lgkmcnt(0)
	v_dot4c_i32_i8_e32 v12, v20, v21
	s_nop 2
	flat_store_dword v[8:9], v12 offset:208
	flat_load_dword v12, v[4:5] offset:24
	s_nop 0
	flat_load_dword v20, v[6:7] offset:20
	s_waitcnt vmcnt(0) lgkmcnt(0)
	v_dot4c_i32_i8_e32 v13, v12, v20
	s_nop 2
	flat_store_dword v[8:9], v13 offset:212
	flat_load_dword v12, v[4:5] offset:24
	s_nop 0
	flat_load_dword v13, v[6:7] offset:24
	s_waitcnt vmcnt(0) lgkmcnt(0)
	v_dot4c_i32_i8_e32 v14, v12, v13
	s_nop 2
	flat_store_dword v[8:9], v14 offset:216
	flat_load_dword v12, v[4:5] offset:24
	flat_load_dword v13, v[6:7] offset:28
	s_waitcnt vmcnt(0) lgkmcnt(0)
	v_dot4c_i32_i8_e32 v15, v12, v13
	s_nop 2
	flat_store_dword v[8:9], v15 offset:220
	flat_load_dword v12, v[4:5] offset:28
	;; [unrolled: 6-line block ×6, first 2 shown]
	flat_load_dwordx2 v[12:13], v[10:11]
	s_waitcnt vmcnt(0) lgkmcnt(0)
	v_ashrrev_i32_e32 v15, 31, v14
	v_add_co_u32_e32 v12, vcc, v12, v14
	v_addc_co_u32_e32 v13, vcc, v13, v15, vcc
	v_add_co_u32_e32 v12, vcc, s4, v12
	v_addc_co_u32_e32 v13, vcc, 0, v13, vcc
	flat_load_dwordx4 v[12:15], v[12:13] offset:1280
	s_waitcnt vmcnt(0) lgkmcnt(0)
	flat_store_dwordx4 v[6:7], v[12:15] offset:16
	flat_load_dword v14, v[0:1] offset:16
	s_nop 0
	flat_load_dwordx2 v[12:13], v[2:3]
	s_waitcnt vmcnt(0) lgkmcnt(0)
	v_ashrrev_i32_e32 v15, 31, v14
	v_add_co_u32_e32 v12, vcc, v12, v14
	v_addc_co_u32_e32 v13, vcc, v13, v15, vcc
	v_add_co_u32_e32 v16, vcc, s4, v12
	v_addc_co_u32_e32 v17, vcc, 0, v13, vcc
	flat_load_dwordx4 v[12:15], v[16:17] offset:1280
	flat_load_dword v20, v[4:5]
	s_waitcnt vmcnt(0) lgkmcnt(0)
	flat_store_dwordx4 v[4:5], v[12:15] offset:16
	flat_load_dword v21, v[6:7]
	flat_load_dwordx4 v[16:19], v[8:9]
	s_nop 0
	flat_load_dwordx4 v[12:15], v[8:9] offset:16
	s_waitcnt vmcnt(0) lgkmcnt(0)
	v_dot4c_i32_i8_e32 v16, v20, v21
	s_nop 2
	flat_store_dword v[8:9], v16
	flat_load_dword v16, v[4:5]
	s_nop 0
	flat_load_dword v20, v[6:7] offset:4
	s_waitcnt vmcnt(0) lgkmcnt(0)
	v_dot4c_i32_i8_e32 v17, v16, v20
	s_nop 2
	flat_store_dword v[8:9], v17 offset:4
	flat_load_dword v16, v[4:5]
	s_nop 0
	flat_load_dword v17, v[6:7] offset:8
	s_waitcnt vmcnt(0) lgkmcnt(0)
	v_dot4c_i32_i8_e32 v18, v16, v17
	s_nop 2
	flat_store_dword v[8:9], v18 offset:8
	flat_load_dword v16, v[4:5]
	flat_load_dword v17, v[6:7] offset:12
	s_waitcnt vmcnt(0) lgkmcnt(0)
	v_dot4c_i32_i8_e32 v19, v16, v17
	s_nop 2
	flat_store_dword v[8:9], v19 offset:12
	flat_load_dword v24, v[4:5] offset:4
	flat_load_dword v25, v[6:7]
	s_nop 0
	flat_load_dwordx4 v[16:19], v[8:9] offset:32
	flat_load_dwordx4 v[20:23], v[8:9] offset:48
	s_waitcnt vmcnt(0) lgkmcnt(0)
	v_dot4c_i32_i8_e32 v16, v24, v25
	s_nop 2
	flat_store_dword v[8:9], v16 offset:32
	flat_load_dword v16, v[4:5] offset:4
	s_nop 0
	flat_load_dword v24, v[6:7] offset:4
	s_waitcnt vmcnt(0) lgkmcnt(0)
	v_dot4c_i32_i8_e32 v17, v16, v24
	s_nop 2
	flat_store_dword v[8:9], v17 offset:36
	flat_load_dword v16, v[4:5] offset:4
	s_nop 0
	flat_load_dword v17, v[6:7] offset:8
	s_waitcnt vmcnt(0) lgkmcnt(0)
	v_dot4c_i32_i8_e32 v18, v16, v17
	s_nop 2
	flat_store_dword v[8:9], v18 offset:40
	flat_load_dword v16, v[4:5] offset:4
	flat_load_dword v17, v[6:7] offset:12
	s_waitcnt vmcnt(0) lgkmcnt(0)
	v_dot4c_i32_i8_e32 v19, v16, v17
	s_nop 2
	flat_store_dword v[8:9], v19 offset:44
	flat_load_dword v28, v[4:5] offset:8
	flat_load_dword v29, v[6:7]
	s_nop 0
	flat_load_dwordx4 v[16:19], v[8:9] offset:64
	flat_load_dwordx4 v[24:27], v[8:9] offset:80
	s_waitcnt vmcnt(0) lgkmcnt(0)
	v_dot4c_i32_i8_e32 v16, v28, v29
	s_nop 2
	flat_store_dword v[8:9], v16 offset:64
	flat_load_dword v16, v[4:5] offset:8
	s_nop 0
	flat_load_dword v28, v[6:7] offset:4
	s_waitcnt vmcnt(0) lgkmcnt(0)
	v_dot4c_i32_i8_e32 v17, v16, v28
	s_nop 2
	flat_store_dword v[8:9], v17 offset:68
	flat_load_dword v16, v[4:5] offset:8
	s_nop 0
	flat_load_dword v17, v[6:7] offset:8
	s_waitcnt vmcnt(0) lgkmcnt(0)
	v_dot4c_i32_i8_e32 v18, v16, v17
	s_nop 2
	flat_store_dword v[8:9], v18 offset:72
	flat_load_dword v16, v[4:5] offset:8
	;; [unrolled: 29-line block ×3, first 2 shown]
	flat_load_dword v17, v[6:7] offset:12
	s_waitcnt vmcnt(0) lgkmcnt(0)
	v_dot4c_i32_i8_e32 v19, v16, v17
	s_nop 2
	flat_store_dword v[8:9], v19 offset:108
	flat_load_dword v16, v[4:5]
	flat_load_dword v17, v[6:7] offset:16
	s_waitcnt vmcnt(0) lgkmcnt(0)
	v_dot4c_i32_i8_e32 v12, v16, v17
	s_nop 2
	flat_store_dword v[8:9], v12 offset:16
	flat_load_dword v12, v[4:5]
	s_nop 0
	flat_load_dword v16, v[6:7] offset:20
	s_waitcnt vmcnt(0) lgkmcnt(0)
	v_dot4c_i32_i8_e32 v13, v12, v16
	s_nop 2
	flat_store_dword v[8:9], v13 offset:20
	flat_load_dword v12, v[4:5]
	s_nop 0
	flat_load_dword v13, v[6:7] offset:24
	s_waitcnt vmcnt(0) lgkmcnt(0)
	v_dot4c_i32_i8_e32 v14, v12, v13
	s_nop 2
	flat_store_dword v[8:9], v14 offset:24
	flat_load_dword v12, v[4:5]
	flat_load_dword v13, v[6:7] offset:28
	s_waitcnt vmcnt(0) lgkmcnt(0)
	v_dot4c_i32_i8_e32 v15, v12, v13
	s_nop 2
	flat_store_dword v[8:9], v15 offset:28
	flat_load_dword v12, v[4:5] offset:4
	flat_load_dword v13, v[6:7] offset:16
	s_waitcnt vmcnt(0) lgkmcnt(0)
	v_dot4c_i32_i8_e32 v20, v12, v13
	s_nop 2
	flat_store_dword v[8:9], v20 offset:48
	flat_load_dword v12, v[4:5] offset:4
	;; [unrolled: 6-line block ×13, first 2 shown]
	flat_load_dwordx2 v[12:13], v[2:3]
	s_waitcnt vmcnt(0) lgkmcnt(0)
	v_ashrrev_i32_e32 v15, 31, v14
	v_add_co_u32_e32 v12, vcc, v12, v14
	v_addc_co_u32_e32 v13, vcc, v13, v15, vcc
	v_add_co_u32_e32 v16, vcc, s4, v12
	v_addc_co_u32_e32 v17, vcc, 0, v13, vcc
	flat_load_dwordx4 v[12:15], v[16:17] offset:1536
	flat_load_dword v20, v[4:5] offset:16
	s_waitcnt vmcnt(0) lgkmcnt(0)
	flat_store_dwordx4 v[4:5], v[12:15]
	flat_load_dword v21, v[6:7]
	s_nop 0
	flat_load_dwordx4 v[12:15], v[8:9] offset:128
	flat_load_dwordx4 v[16:19], v[8:9] offset:160
	s_waitcnt vmcnt(0) lgkmcnt(0)
	v_dot4c_i32_i8_e32 v12, v20, v21
	s_nop 2
	flat_store_dword v[8:9], v12 offset:128
	flat_load_dword v12, v[4:5] offset:16
	s_nop 0
	flat_load_dword v20, v[6:7] offset:4
	s_waitcnt vmcnt(0) lgkmcnt(0)
	v_dot4c_i32_i8_e32 v13, v12, v20
	s_nop 2
	flat_store_dword v[8:9], v13 offset:132
	flat_load_dword v12, v[4:5] offset:16
	s_nop 0
	flat_load_dword v13, v[6:7] offset:8
	s_waitcnt vmcnt(0) lgkmcnt(0)
	v_dot4c_i32_i8_e32 v14, v12, v13
	s_nop 2
	flat_store_dword v[8:9], v14 offset:136
	flat_load_dword v12, v[4:5] offset:16
	flat_load_dword v13, v[6:7] offset:12
	s_waitcnt vmcnt(0) lgkmcnt(0)
	v_dot4c_i32_i8_e32 v15, v12, v13
	s_nop 2
	flat_store_dword v[8:9], v15 offset:140
	flat_load_dword v12, v[4:5] offset:20
	flat_load_dword v13, v[6:7]
	s_waitcnt vmcnt(0) lgkmcnt(0)
	v_dot4c_i32_i8_e32 v16, v12, v13
	s_nop 2
	flat_store_dword v[8:9], v16 offset:160
	flat_load_dword v12, v[4:5] offset:20
	flat_load_dword v13, v[6:7] offset:4
	s_waitcnt vmcnt(0) lgkmcnt(0)
	v_dot4c_i32_i8_e32 v17, v12, v13
	s_nop 2
	flat_store_dword v[8:9], v17 offset:164
	flat_load_dword v12, v[4:5] offset:20
	flat_load_dword v13, v[6:7] offset:8
	;; [unrolled: 6-line block ×3, first 2 shown]
	s_waitcnt vmcnt(0) lgkmcnt(0)
	v_dot4c_i32_i8_e32 v19, v12, v13
	s_nop 2
	flat_store_dword v[8:9], v19 offset:172
	flat_load_dword v20, v[4:5] offset:24
	flat_load_dword v21, v[6:7]
	flat_load_dwordx4 v[12:15], v[8:9] offset:192
	s_nop 0
	flat_load_dwordx4 v[16:19], v[8:9] offset:224
	s_waitcnt vmcnt(0) lgkmcnt(0)
	v_dot4c_i32_i8_e32 v12, v20, v21
	s_nop 2
	flat_store_dword v[8:9], v12 offset:192
	flat_load_dword v12, v[4:5] offset:24
	s_nop 0
	flat_load_dword v20, v[6:7] offset:4
	s_waitcnt vmcnt(0) lgkmcnt(0)
	v_dot4c_i32_i8_e32 v13, v12, v20
	s_nop 2
	flat_store_dword v[8:9], v13 offset:196
	flat_load_dword v12, v[4:5] offset:24
	s_nop 0
	flat_load_dword v13, v[6:7] offset:8
	s_waitcnt vmcnt(0) lgkmcnt(0)
	v_dot4c_i32_i8_e32 v14, v12, v13
	s_nop 2
	flat_store_dword v[8:9], v14 offset:200
	flat_load_dword v12, v[4:5] offset:24
	flat_load_dword v13, v[6:7] offset:12
	s_waitcnt vmcnt(0) lgkmcnt(0)
	v_dot4c_i32_i8_e32 v15, v12, v13
	s_nop 2
	flat_store_dword v[8:9], v15 offset:204
	flat_load_dword v12, v[4:5] offset:28
	flat_load_dword v13, v[6:7]
	s_waitcnt vmcnt(0) lgkmcnt(0)
	v_dot4c_i32_i8_e32 v16, v12, v13
	s_nop 2
	flat_store_dword v[8:9], v16 offset:224
	flat_load_dword v12, v[4:5] offset:28
	flat_load_dword v13, v[6:7] offset:4
	s_waitcnt vmcnt(0) lgkmcnt(0)
	v_dot4c_i32_i8_e32 v17, v12, v13
	s_nop 2
	flat_store_dword v[8:9], v17 offset:228
	flat_load_dword v12, v[4:5] offset:28
	flat_load_dword v13, v[6:7] offset:8
	;; [unrolled: 6-line block ×3, first 2 shown]
	s_waitcnt vmcnt(0) lgkmcnt(0)
	v_dot4c_i32_i8_e32 v19, v12, v13
	s_nop 2
	flat_store_dword v[8:9], v19 offset:236
	flat_load_dword v14, v[0:1] offset:48
	flat_load_dwordx2 v[12:13], v[10:11]
	s_waitcnt vmcnt(0) lgkmcnt(0)
	v_ashrrev_i32_e32 v15, 31, v14
	v_add_co_u32_e32 v12, vcc, v12, v14
	v_addc_co_u32_e32 v13, vcc, v13, v15, vcc
	v_add_co_u32_e32 v16, vcc, s4, v12
	v_addc_co_u32_e32 v17, vcc, 0, v13, vcc
	flat_load_dwordx4 v[12:15], v[16:17] offset:1536
	flat_load_dword v20, v[6:7] offset:16
	s_waitcnt vmcnt(0) lgkmcnt(0)
	flat_store_dwordx4 v[6:7], v[12:15]
	flat_load_dword v21, v[4:5] offset:16
	s_nop 0
	flat_load_dwordx4 v[12:15], v[8:9] offset:144
	flat_load_dwordx4 v[16:19], v[8:9] offset:176
	s_waitcnt vmcnt(0) lgkmcnt(0)
	v_dot4c_i32_i8_e32 v12, v21, v20
	s_nop 2
	flat_store_dword v[8:9], v12 offset:144
	flat_load_dword v12, v[4:5] offset:16
	s_nop 0
	flat_load_dword v20, v[6:7] offset:20
	s_waitcnt vmcnt(0) lgkmcnt(0)
	v_dot4c_i32_i8_e32 v13, v12, v20
	s_nop 2
	flat_store_dword v[8:9], v13 offset:148
	flat_load_dword v12, v[4:5] offset:16
	s_nop 0
	flat_load_dword v13, v[6:7] offset:24
	s_waitcnt vmcnt(0) lgkmcnt(0)
	v_dot4c_i32_i8_e32 v14, v12, v13
	s_nop 2
	flat_store_dword v[8:9], v14 offset:152
	flat_load_dword v12, v[4:5] offset:16
	flat_load_dword v13, v[6:7] offset:28
	s_waitcnt vmcnt(0) lgkmcnt(0)
	v_dot4c_i32_i8_e32 v15, v12, v13
	s_nop 2
	flat_store_dword v[8:9], v15 offset:156
	flat_load_dword v12, v[4:5] offset:20
	;; [unrolled: 6-line block ×6, first 2 shown]
	flat_load_dword v21, v[6:7] offset:16
	flat_load_dwordx4 v[12:15], v[8:9] offset:208
	s_nop 0
	flat_load_dwordx4 v[16:19], v[8:9] offset:240
	s_waitcnt vmcnt(0) lgkmcnt(0)
	v_dot4c_i32_i8_e32 v12, v20, v21
	s_nop 2
	flat_store_dword v[8:9], v12 offset:208
	flat_load_dword v12, v[4:5] offset:24
	s_nop 0
	flat_load_dword v20, v[6:7] offset:20
	s_waitcnt vmcnt(0) lgkmcnt(0)
	v_dot4c_i32_i8_e32 v13, v12, v20
	s_nop 2
	flat_store_dword v[8:9], v13 offset:212
	flat_load_dword v12, v[4:5] offset:24
	s_nop 0
	flat_load_dword v13, v[6:7] offset:24
	s_waitcnt vmcnt(0) lgkmcnt(0)
	v_dot4c_i32_i8_e32 v14, v12, v13
	s_nop 2
	flat_store_dword v[8:9], v14 offset:216
	flat_load_dword v12, v[4:5] offset:24
	flat_load_dword v13, v[6:7] offset:28
	s_waitcnt vmcnt(0) lgkmcnt(0)
	v_dot4c_i32_i8_e32 v15, v12, v13
	s_nop 2
	flat_store_dword v[8:9], v15 offset:220
	flat_load_dword v12, v[4:5] offset:28
	flat_load_dword v13, v[6:7] offset:16
	s_waitcnt vmcnt(0) lgkmcnt(0)
	v_dot4c_i32_i8_e32 v16, v12, v13
	s_nop 2
	flat_store_dword v[8:9], v16 offset:240
	flat_load_dword v12, v[4:5] offset:28
	flat_load_dword v13, v[6:7] offset:20
	s_waitcnt vmcnt(0) lgkmcnt(0)
	v_dot4c_i32_i8_e32 v17, v12, v13
	s_nop 2
	flat_store_dword v[8:9], v17 offset:244
	flat_load_dword v12, v[4:5] offset:28
	flat_load_dword v13, v[6:7] offset:24
	s_waitcnt vmcnt(0) lgkmcnt(0)
	v_dot4c_i32_i8_e32 v18, v12, v13
	s_nop 2
	flat_store_dword v[8:9], v18 offset:248
	flat_load_dword v12, v[4:5] offset:28
	flat_load_dword v13, v[6:7] offset:28
	s_waitcnt vmcnt(0) lgkmcnt(0)
	v_dot4c_i32_i8_e32 v19, v12, v13
	s_nop 2
	flat_store_dword v[8:9], v19 offset:252
	flat_load_dword v14, v[0:1] offset:48
	flat_load_dwordx2 v[12:13], v[10:11]
	s_waitcnt vmcnt(0) lgkmcnt(0)
	v_ashrrev_i32_e32 v15, 31, v14
	v_add_co_u32_e32 v12, vcc, v12, v14
	v_addc_co_u32_e32 v13, vcc, v13, v15, vcc
	v_add_co_u32_e32 v12, vcc, s4, v12
	v_addc_co_u32_e32 v13, vcc, 0, v13, vcc
	flat_load_dwordx4 v[12:15], v[12:13] offset:1792
	s_waitcnt vmcnt(0) lgkmcnt(0)
	flat_store_dwordx4 v[6:7], v[12:15] offset:16
	flat_load_dword v14, v[0:1] offset:16
	s_nop 0
	flat_load_dwordx2 v[12:13], v[2:3]
	s_waitcnt vmcnt(0) lgkmcnt(0)
	v_ashrrev_i32_e32 v15, 31, v14
	v_add_co_u32_e32 v12, vcc, v12, v14
	v_addc_co_u32_e32 v13, vcc, v13, v15, vcc
	v_add_co_u32_e32 v16, vcc, s4, v12
	v_addc_co_u32_e32 v17, vcc, 0, v13, vcc
	flat_load_dwordx4 v[12:15], v[16:17] offset:1792
	flat_load_dword v20, v[4:5]
	s_waitcnt vmcnt(0) lgkmcnt(0)
	flat_store_dwordx4 v[4:5], v[12:15] offset:16
	flat_load_dword v21, v[6:7]
	flat_load_dwordx4 v[16:19], v[8:9]
	s_nop 0
	flat_load_dwordx4 v[12:15], v[8:9] offset:16
	s_waitcnt vmcnt(0) lgkmcnt(0)
	v_dot4c_i32_i8_e32 v16, v20, v21
	s_nop 2
	flat_store_dword v[8:9], v16
	flat_load_dword v16, v[4:5]
	s_nop 0
	flat_load_dword v20, v[6:7] offset:4
	s_waitcnt vmcnt(0) lgkmcnt(0)
	v_dot4c_i32_i8_e32 v17, v16, v20
	s_nop 2
	flat_store_dword v[8:9], v17 offset:4
	flat_load_dword v16, v[4:5]
	s_nop 0
	flat_load_dword v17, v[6:7] offset:8
	s_waitcnt vmcnt(0) lgkmcnt(0)
	v_dot4c_i32_i8_e32 v18, v16, v17
	s_nop 2
	flat_store_dword v[8:9], v18 offset:8
	flat_load_dword v16, v[4:5]
	flat_load_dword v17, v[6:7] offset:12
	s_waitcnt vmcnt(0) lgkmcnt(0)
	v_dot4c_i32_i8_e32 v19, v16, v17
	s_nop 2
	flat_store_dword v[8:9], v19 offset:12
	flat_load_dword v24, v[4:5] offset:4
	flat_load_dword v25, v[6:7]
	s_nop 0
	flat_load_dwordx4 v[16:19], v[8:9] offset:32
	flat_load_dwordx4 v[20:23], v[8:9] offset:48
	s_waitcnt vmcnt(0) lgkmcnt(0)
	v_dot4c_i32_i8_e32 v16, v24, v25
	s_nop 2
	flat_store_dword v[8:9], v16 offset:32
	flat_load_dword v16, v[4:5] offset:4
	s_nop 0
	flat_load_dword v24, v[6:7] offset:4
	s_waitcnt vmcnt(0) lgkmcnt(0)
	v_dot4c_i32_i8_e32 v17, v16, v24
	s_nop 2
	flat_store_dword v[8:9], v17 offset:36
	flat_load_dword v16, v[4:5] offset:4
	s_nop 0
	flat_load_dword v17, v[6:7] offset:8
	s_waitcnt vmcnt(0) lgkmcnt(0)
	v_dot4c_i32_i8_e32 v18, v16, v17
	s_nop 2
	flat_store_dword v[8:9], v18 offset:40
	flat_load_dword v16, v[4:5] offset:4
	flat_load_dword v17, v[6:7] offset:12
	s_waitcnt vmcnt(0) lgkmcnt(0)
	v_dot4c_i32_i8_e32 v19, v16, v17
	s_nop 2
	flat_store_dword v[8:9], v19 offset:44
	flat_load_dword v28, v[4:5] offset:8
	flat_load_dword v29, v[6:7]
	s_nop 0
	flat_load_dwordx4 v[16:19], v[8:9] offset:64
	flat_load_dwordx4 v[24:27], v[8:9] offset:80
	s_waitcnt vmcnt(0) lgkmcnt(0)
	v_dot4c_i32_i8_e32 v16, v28, v29
	s_nop 2
	flat_store_dword v[8:9], v16 offset:64
	flat_load_dword v16, v[4:5] offset:8
	s_nop 0
	flat_load_dword v28, v[6:7] offset:4
	s_waitcnt vmcnt(0) lgkmcnt(0)
	v_dot4c_i32_i8_e32 v17, v16, v28
	s_nop 2
	flat_store_dword v[8:9], v17 offset:68
	flat_load_dword v16, v[4:5] offset:8
	s_nop 0
	flat_load_dword v17, v[6:7] offset:8
	s_waitcnt vmcnt(0) lgkmcnt(0)
	v_dot4c_i32_i8_e32 v18, v16, v17
	s_nop 2
	flat_store_dword v[8:9], v18 offset:72
	flat_load_dword v16, v[4:5] offset:8
	;; [unrolled: 29-line block ×3, first 2 shown]
	flat_load_dword v17, v[6:7] offset:12
	s_waitcnt vmcnt(0) lgkmcnt(0)
	v_dot4c_i32_i8_e32 v19, v16, v17
	s_nop 2
	flat_store_dword v[8:9], v19 offset:108
	flat_load_dword v16, v[4:5]
	flat_load_dword v17, v[6:7] offset:16
	s_waitcnt vmcnt(0) lgkmcnt(0)
	v_dot4c_i32_i8_e32 v12, v16, v17
	s_nop 2
	flat_store_dword v[8:9], v12 offset:16
	flat_load_dword v12, v[4:5]
	s_nop 0
	flat_load_dword v16, v[6:7] offset:20
	s_waitcnt vmcnt(0) lgkmcnt(0)
	v_dot4c_i32_i8_e32 v13, v12, v16
	s_nop 2
	flat_store_dword v[8:9], v13 offset:20
	flat_load_dword v12, v[4:5]
	s_nop 0
	flat_load_dword v13, v[6:7] offset:24
	s_waitcnt vmcnt(0) lgkmcnt(0)
	v_dot4c_i32_i8_e32 v14, v12, v13
	s_nop 2
	flat_store_dword v[8:9], v14 offset:24
	flat_load_dword v12, v[4:5]
	flat_load_dword v13, v[6:7] offset:28
	s_waitcnt vmcnt(0) lgkmcnt(0)
	v_dot4c_i32_i8_e32 v15, v12, v13
	s_nop 2
	flat_store_dword v[8:9], v15 offset:28
	flat_load_dword v12, v[4:5] offset:4
	flat_load_dword v13, v[6:7] offset:16
	s_waitcnt vmcnt(0) lgkmcnt(0)
	v_dot4c_i32_i8_e32 v20, v12, v13
	s_nop 2
	flat_store_dword v[8:9], v20 offset:48
	flat_load_dword v12, v[4:5] offset:4
	;; [unrolled: 6-line block ×13, first 2 shown]
	flat_load_dwordx2 v[12:13], v[2:3]
	s_waitcnt vmcnt(0) lgkmcnt(0)
	v_ashrrev_i32_e32 v15, 31, v14
	v_add_co_u32_e32 v12, vcc, v12, v14
	v_addc_co_u32_e32 v13, vcc, v13, v15, vcc
	v_add_co_u32_e32 v16, vcc, s4, v12
	v_addc_co_u32_e32 v17, vcc, 0, v13, vcc
	flat_load_dwordx4 v[12:15], v[16:17] offset:2048
	flat_load_dword v20, v[4:5] offset:16
	s_waitcnt vmcnt(0) lgkmcnt(0)
	flat_store_dwordx4 v[4:5], v[12:15]
	flat_load_dword v21, v[6:7]
	s_nop 0
	flat_load_dwordx4 v[12:15], v[8:9] offset:128
	flat_load_dwordx4 v[16:19], v[8:9] offset:160
	s_waitcnt vmcnt(0) lgkmcnt(0)
	v_dot4c_i32_i8_e32 v12, v20, v21
	s_nop 2
	flat_store_dword v[8:9], v12 offset:128
	flat_load_dword v12, v[4:5] offset:16
	s_nop 0
	flat_load_dword v20, v[6:7] offset:4
	s_waitcnt vmcnt(0) lgkmcnt(0)
	v_dot4c_i32_i8_e32 v13, v12, v20
	s_nop 2
	flat_store_dword v[8:9], v13 offset:132
	flat_load_dword v12, v[4:5] offset:16
	s_nop 0
	flat_load_dword v13, v[6:7] offset:8
	s_waitcnt vmcnt(0) lgkmcnt(0)
	v_dot4c_i32_i8_e32 v14, v12, v13
	s_nop 2
	flat_store_dword v[8:9], v14 offset:136
	flat_load_dword v12, v[4:5] offset:16
	flat_load_dword v13, v[6:7] offset:12
	s_waitcnt vmcnt(0) lgkmcnt(0)
	v_dot4c_i32_i8_e32 v15, v12, v13
	s_nop 2
	flat_store_dword v[8:9], v15 offset:140
	flat_load_dword v12, v[4:5] offset:20
	flat_load_dword v13, v[6:7]
	s_waitcnt vmcnt(0) lgkmcnt(0)
	v_dot4c_i32_i8_e32 v16, v12, v13
	s_nop 2
	flat_store_dword v[8:9], v16 offset:160
	flat_load_dword v12, v[4:5] offset:20
	flat_load_dword v13, v[6:7] offset:4
	s_waitcnt vmcnt(0) lgkmcnt(0)
	v_dot4c_i32_i8_e32 v17, v12, v13
	s_nop 2
	flat_store_dword v[8:9], v17 offset:164
	flat_load_dword v12, v[4:5] offset:20
	flat_load_dword v13, v[6:7] offset:8
	;; [unrolled: 6-line block ×3, first 2 shown]
	s_waitcnt vmcnt(0) lgkmcnt(0)
	v_dot4c_i32_i8_e32 v19, v12, v13
	s_nop 2
	flat_store_dword v[8:9], v19 offset:172
	flat_load_dword v20, v[4:5] offset:24
	flat_load_dword v21, v[6:7]
	flat_load_dwordx4 v[12:15], v[8:9] offset:192
	s_nop 0
	flat_load_dwordx4 v[16:19], v[8:9] offset:224
	s_waitcnt vmcnt(0) lgkmcnt(0)
	v_dot4c_i32_i8_e32 v12, v20, v21
	s_nop 2
	flat_store_dword v[8:9], v12 offset:192
	flat_load_dword v12, v[4:5] offset:24
	s_nop 0
	flat_load_dword v20, v[6:7] offset:4
	s_waitcnt vmcnt(0) lgkmcnt(0)
	v_dot4c_i32_i8_e32 v13, v12, v20
	s_nop 2
	flat_store_dword v[8:9], v13 offset:196
	flat_load_dword v12, v[4:5] offset:24
	s_nop 0
	flat_load_dword v13, v[6:7] offset:8
	s_waitcnt vmcnt(0) lgkmcnt(0)
	v_dot4c_i32_i8_e32 v14, v12, v13
	s_nop 2
	flat_store_dword v[8:9], v14 offset:200
	flat_load_dword v12, v[4:5] offset:24
	flat_load_dword v13, v[6:7] offset:12
	s_waitcnt vmcnt(0) lgkmcnt(0)
	v_dot4c_i32_i8_e32 v15, v12, v13
	s_nop 2
	flat_store_dword v[8:9], v15 offset:204
	flat_load_dword v12, v[4:5] offset:28
	flat_load_dword v13, v[6:7]
	s_waitcnt vmcnt(0) lgkmcnt(0)
	v_dot4c_i32_i8_e32 v16, v12, v13
	s_nop 2
	flat_store_dword v[8:9], v16 offset:224
	flat_load_dword v12, v[4:5] offset:28
	flat_load_dword v13, v[6:7] offset:4
	s_waitcnt vmcnt(0) lgkmcnt(0)
	v_dot4c_i32_i8_e32 v17, v12, v13
	s_nop 2
	flat_store_dword v[8:9], v17 offset:228
	flat_load_dword v12, v[4:5] offset:28
	flat_load_dword v13, v[6:7] offset:8
	;; [unrolled: 6-line block ×3, first 2 shown]
	s_waitcnt vmcnt(0) lgkmcnt(0)
	v_dot4c_i32_i8_e32 v19, v12, v13
	s_nop 2
	flat_store_dword v[8:9], v19 offset:236
	flat_load_dword v14, v[0:1] offset:48
	flat_load_dwordx2 v[12:13], v[10:11]
	s_waitcnt vmcnt(0) lgkmcnt(0)
	v_ashrrev_i32_e32 v15, 31, v14
	v_add_co_u32_e32 v12, vcc, v12, v14
	v_addc_co_u32_e32 v13, vcc, v13, v15, vcc
	v_add_co_u32_e32 v16, vcc, s4, v12
	v_addc_co_u32_e32 v17, vcc, 0, v13, vcc
	flat_load_dwordx4 v[12:15], v[16:17] offset:2048
	flat_load_dword v20, v[6:7] offset:16
	s_waitcnt vmcnt(0) lgkmcnt(0)
	flat_store_dwordx4 v[6:7], v[12:15]
	flat_load_dword v21, v[4:5] offset:16
	s_nop 0
	flat_load_dwordx4 v[12:15], v[8:9] offset:144
	flat_load_dwordx4 v[16:19], v[8:9] offset:176
	s_waitcnt vmcnt(0) lgkmcnt(0)
	v_dot4c_i32_i8_e32 v12, v21, v20
	s_nop 2
	flat_store_dword v[8:9], v12 offset:144
	flat_load_dword v12, v[4:5] offset:16
	s_nop 0
	flat_load_dword v20, v[6:7] offset:20
	s_waitcnt vmcnt(0) lgkmcnt(0)
	v_dot4c_i32_i8_e32 v13, v12, v20
	s_nop 2
	flat_store_dword v[8:9], v13 offset:148
	flat_load_dword v12, v[4:5] offset:16
	s_nop 0
	flat_load_dword v13, v[6:7] offset:24
	s_waitcnt vmcnt(0) lgkmcnt(0)
	v_dot4c_i32_i8_e32 v14, v12, v13
	s_nop 2
	flat_store_dword v[8:9], v14 offset:152
	flat_load_dword v12, v[4:5] offset:16
	flat_load_dword v13, v[6:7] offset:28
	s_waitcnt vmcnt(0) lgkmcnt(0)
	v_dot4c_i32_i8_e32 v15, v12, v13
	s_nop 2
	flat_store_dword v[8:9], v15 offset:156
	flat_load_dword v12, v[4:5] offset:20
	;; [unrolled: 6-line block ×6, first 2 shown]
	flat_load_dword v21, v[6:7] offset:16
	flat_load_dwordx4 v[12:15], v[8:9] offset:208
	s_nop 0
	flat_load_dwordx4 v[16:19], v[8:9] offset:240
	s_waitcnt vmcnt(0) lgkmcnt(0)
	v_dot4c_i32_i8_e32 v12, v20, v21
	s_nop 2
	flat_store_dword v[8:9], v12 offset:208
	flat_load_dword v12, v[4:5] offset:24
	s_nop 0
	flat_load_dword v20, v[6:7] offset:20
	s_waitcnt vmcnt(0) lgkmcnt(0)
	v_dot4c_i32_i8_e32 v13, v12, v20
	s_nop 2
	flat_store_dword v[8:9], v13 offset:212
	flat_load_dword v12, v[4:5] offset:24
	s_nop 0
	flat_load_dword v13, v[6:7] offset:24
	s_waitcnt vmcnt(0) lgkmcnt(0)
	v_dot4c_i32_i8_e32 v14, v12, v13
	s_nop 2
	flat_store_dword v[8:9], v14 offset:216
	flat_load_dword v12, v[4:5] offset:24
	flat_load_dword v13, v[6:7] offset:28
	s_waitcnt vmcnt(0) lgkmcnt(0)
	v_dot4c_i32_i8_e32 v15, v12, v13
	s_nop 2
	flat_store_dword v[8:9], v15 offset:220
	flat_load_dword v12, v[4:5] offset:28
	;; [unrolled: 6-line block ×6, first 2 shown]
	flat_load_dwordx2 v[12:13], v[10:11]
	s_waitcnt vmcnt(0) lgkmcnt(0)
	v_ashrrev_i32_e32 v15, 31, v14
	v_add_co_u32_e32 v12, vcc, v12, v14
	v_addc_co_u32_e32 v13, vcc, v13, v15, vcc
	v_add_co_u32_e32 v12, vcc, s4, v12
	v_addc_co_u32_e32 v13, vcc, 0, v13, vcc
	flat_load_dwordx4 v[12:15], v[12:13] offset:2304
	s_waitcnt vmcnt(0) lgkmcnt(0)
	flat_store_dwordx4 v[6:7], v[12:15] offset:16
	flat_load_dword v14, v[0:1] offset:16
	s_nop 0
	flat_load_dwordx2 v[12:13], v[2:3]
	s_waitcnt vmcnt(0) lgkmcnt(0)
	v_ashrrev_i32_e32 v15, 31, v14
	v_add_co_u32_e32 v12, vcc, v12, v14
	v_addc_co_u32_e32 v13, vcc, v13, v15, vcc
	v_add_co_u32_e32 v16, vcc, s4, v12
	v_addc_co_u32_e32 v17, vcc, 0, v13, vcc
	flat_load_dwordx4 v[12:15], v[16:17] offset:2304
	flat_load_dword v20, v[4:5]
	s_waitcnt vmcnt(0) lgkmcnt(0)
	flat_store_dwordx4 v[4:5], v[12:15] offset:16
	flat_load_dword v21, v[6:7]
	flat_load_dwordx4 v[16:19], v[8:9]
	s_nop 0
	flat_load_dwordx4 v[12:15], v[8:9] offset:16
	s_waitcnt vmcnt(0) lgkmcnt(0)
	v_dot4c_i32_i8_e32 v16, v20, v21
	s_nop 2
	flat_store_dword v[8:9], v16
	flat_load_dword v16, v[4:5]
	s_nop 0
	flat_load_dword v20, v[6:7] offset:4
	s_waitcnt vmcnt(0) lgkmcnt(0)
	v_dot4c_i32_i8_e32 v17, v16, v20
	s_nop 2
	flat_store_dword v[8:9], v17 offset:4
	flat_load_dword v16, v[4:5]
	s_nop 0
	flat_load_dword v17, v[6:7] offset:8
	s_waitcnt vmcnt(0) lgkmcnt(0)
	v_dot4c_i32_i8_e32 v18, v16, v17
	s_nop 2
	flat_store_dword v[8:9], v18 offset:8
	flat_load_dword v16, v[4:5]
	flat_load_dword v17, v[6:7] offset:12
	s_waitcnt vmcnt(0) lgkmcnt(0)
	v_dot4c_i32_i8_e32 v19, v16, v17
	s_nop 2
	flat_store_dword v[8:9], v19 offset:12
	flat_load_dword v24, v[4:5] offset:4
	flat_load_dword v25, v[6:7]
	s_nop 0
	flat_load_dwordx4 v[16:19], v[8:9] offset:32
	flat_load_dwordx4 v[20:23], v[8:9] offset:48
	s_waitcnt vmcnt(0) lgkmcnt(0)
	v_dot4c_i32_i8_e32 v16, v24, v25
	s_nop 2
	flat_store_dword v[8:9], v16 offset:32
	flat_load_dword v16, v[4:5] offset:4
	s_nop 0
	flat_load_dword v24, v[6:7] offset:4
	s_waitcnt vmcnt(0) lgkmcnt(0)
	v_dot4c_i32_i8_e32 v17, v16, v24
	s_nop 2
	flat_store_dword v[8:9], v17 offset:36
	flat_load_dword v16, v[4:5] offset:4
	s_nop 0
	flat_load_dword v17, v[6:7] offset:8
	s_waitcnt vmcnt(0) lgkmcnt(0)
	v_dot4c_i32_i8_e32 v18, v16, v17
	s_nop 2
	flat_store_dword v[8:9], v18 offset:40
	flat_load_dword v16, v[4:5] offset:4
	flat_load_dword v17, v[6:7] offset:12
	s_waitcnt vmcnt(0) lgkmcnt(0)
	v_dot4c_i32_i8_e32 v19, v16, v17
	s_nop 2
	flat_store_dword v[8:9], v19 offset:44
	flat_load_dword v28, v[4:5] offset:8
	flat_load_dword v29, v[6:7]
	s_nop 0
	flat_load_dwordx4 v[16:19], v[8:9] offset:64
	flat_load_dwordx4 v[24:27], v[8:9] offset:80
	s_waitcnt vmcnt(0) lgkmcnt(0)
	v_dot4c_i32_i8_e32 v16, v28, v29
	s_nop 2
	flat_store_dword v[8:9], v16 offset:64
	flat_load_dword v16, v[4:5] offset:8
	s_nop 0
	flat_load_dword v28, v[6:7] offset:4
	s_waitcnt vmcnt(0) lgkmcnt(0)
	v_dot4c_i32_i8_e32 v17, v16, v28
	s_nop 2
	flat_store_dword v[8:9], v17 offset:68
	flat_load_dword v16, v[4:5] offset:8
	s_nop 0
	flat_load_dword v17, v[6:7] offset:8
	s_waitcnt vmcnt(0) lgkmcnt(0)
	v_dot4c_i32_i8_e32 v18, v16, v17
	s_nop 2
	flat_store_dword v[8:9], v18 offset:72
	flat_load_dword v16, v[4:5] offset:8
	;; [unrolled: 29-line block ×3, first 2 shown]
	flat_load_dword v17, v[6:7] offset:12
	s_waitcnt vmcnt(0) lgkmcnt(0)
	v_dot4c_i32_i8_e32 v19, v16, v17
	s_nop 2
	flat_store_dword v[8:9], v19 offset:108
	flat_load_dword v16, v[4:5]
	flat_load_dword v17, v[6:7] offset:16
	s_waitcnt vmcnt(0) lgkmcnt(0)
	v_dot4c_i32_i8_e32 v12, v16, v17
	s_nop 2
	flat_store_dword v[8:9], v12 offset:16
	flat_load_dword v12, v[4:5]
	s_nop 0
	flat_load_dword v16, v[6:7] offset:20
	s_waitcnt vmcnt(0) lgkmcnt(0)
	v_dot4c_i32_i8_e32 v13, v12, v16
	s_nop 2
	flat_store_dword v[8:9], v13 offset:20
	flat_load_dword v12, v[4:5]
	s_nop 0
	flat_load_dword v13, v[6:7] offset:24
	s_waitcnt vmcnt(0) lgkmcnt(0)
	v_dot4c_i32_i8_e32 v14, v12, v13
	s_nop 2
	flat_store_dword v[8:9], v14 offset:24
	flat_load_dword v12, v[4:5]
	flat_load_dword v13, v[6:7] offset:28
	s_waitcnt vmcnt(0) lgkmcnt(0)
	v_dot4c_i32_i8_e32 v15, v12, v13
	s_nop 2
	flat_store_dword v[8:9], v15 offset:28
	flat_load_dword v12, v[4:5] offset:4
	flat_load_dword v13, v[6:7] offset:16
	s_waitcnt vmcnt(0) lgkmcnt(0)
	v_dot4c_i32_i8_e32 v20, v12, v13
	s_nop 2
	flat_store_dword v[8:9], v20 offset:48
	flat_load_dword v12, v[4:5] offset:4
	;; [unrolled: 6-line block ×13, first 2 shown]
	flat_load_dwordx2 v[12:13], v[2:3]
	s_waitcnt vmcnt(0) lgkmcnt(0)
	v_ashrrev_i32_e32 v15, 31, v14
	v_add_co_u32_e32 v12, vcc, v12, v14
	v_addc_co_u32_e32 v13, vcc, v13, v15, vcc
	v_add_co_u32_e32 v16, vcc, s4, v12
	v_addc_co_u32_e32 v17, vcc, 0, v13, vcc
	flat_load_dwordx4 v[12:15], v[16:17] offset:2560
	flat_load_dword v20, v[4:5] offset:16
	s_waitcnt vmcnt(0) lgkmcnt(0)
	flat_store_dwordx4 v[4:5], v[12:15]
	flat_load_dword v21, v[6:7]
	s_nop 0
	flat_load_dwordx4 v[12:15], v[8:9] offset:128
	flat_load_dwordx4 v[16:19], v[8:9] offset:160
	s_waitcnt vmcnt(0) lgkmcnt(0)
	v_dot4c_i32_i8_e32 v12, v20, v21
	s_nop 2
	flat_store_dword v[8:9], v12 offset:128
	flat_load_dword v12, v[4:5] offset:16
	s_nop 0
	flat_load_dword v20, v[6:7] offset:4
	s_waitcnt vmcnt(0) lgkmcnt(0)
	v_dot4c_i32_i8_e32 v13, v12, v20
	s_nop 2
	flat_store_dword v[8:9], v13 offset:132
	flat_load_dword v12, v[4:5] offset:16
	s_nop 0
	flat_load_dword v13, v[6:7] offset:8
	s_waitcnt vmcnt(0) lgkmcnt(0)
	v_dot4c_i32_i8_e32 v14, v12, v13
	s_nop 2
	flat_store_dword v[8:9], v14 offset:136
	flat_load_dword v12, v[4:5] offset:16
	flat_load_dword v13, v[6:7] offset:12
	s_waitcnt vmcnt(0) lgkmcnt(0)
	v_dot4c_i32_i8_e32 v15, v12, v13
	s_nop 2
	flat_store_dword v[8:9], v15 offset:140
	flat_load_dword v12, v[4:5] offset:20
	flat_load_dword v13, v[6:7]
	s_waitcnt vmcnt(0) lgkmcnt(0)
	v_dot4c_i32_i8_e32 v16, v12, v13
	s_nop 2
	flat_store_dword v[8:9], v16 offset:160
	flat_load_dword v12, v[4:5] offset:20
	flat_load_dword v13, v[6:7] offset:4
	s_waitcnt vmcnt(0) lgkmcnt(0)
	v_dot4c_i32_i8_e32 v17, v12, v13
	s_nop 2
	flat_store_dword v[8:9], v17 offset:164
	flat_load_dword v12, v[4:5] offset:20
	flat_load_dword v13, v[6:7] offset:8
	;; [unrolled: 6-line block ×3, first 2 shown]
	s_waitcnt vmcnt(0) lgkmcnt(0)
	v_dot4c_i32_i8_e32 v19, v12, v13
	s_nop 2
	flat_store_dword v[8:9], v19 offset:172
	flat_load_dword v20, v[4:5] offset:24
	flat_load_dword v21, v[6:7]
	flat_load_dwordx4 v[12:15], v[8:9] offset:192
	s_nop 0
	flat_load_dwordx4 v[16:19], v[8:9] offset:224
	s_waitcnt vmcnt(0) lgkmcnt(0)
	v_dot4c_i32_i8_e32 v12, v20, v21
	s_nop 2
	flat_store_dword v[8:9], v12 offset:192
	flat_load_dword v12, v[4:5] offset:24
	s_nop 0
	flat_load_dword v20, v[6:7] offset:4
	s_waitcnt vmcnt(0) lgkmcnt(0)
	v_dot4c_i32_i8_e32 v13, v12, v20
	s_nop 2
	flat_store_dword v[8:9], v13 offset:196
	flat_load_dword v12, v[4:5] offset:24
	s_nop 0
	flat_load_dword v13, v[6:7] offset:8
	s_waitcnt vmcnt(0) lgkmcnt(0)
	v_dot4c_i32_i8_e32 v14, v12, v13
	s_nop 2
	flat_store_dword v[8:9], v14 offset:200
	flat_load_dword v12, v[4:5] offset:24
	flat_load_dword v13, v[6:7] offset:12
	s_waitcnt vmcnt(0) lgkmcnt(0)
	v_dot4c_i32_i8_e32 v15, v12, v13
	s_nop 2
	flat_store_dword v[8:9], v15 offset:204
	flat_load_dword v12, v[4:5] offset:28
	flat_load_dword v13, v[6:7]
	s_waitcnt vmcnt(0) lgkmcnt(0)
	v_dot4c_i32_i8_e32 v16, v12, v13
	s_nop 2
	flat_store_dword v[8:9], v16 offset:224
	flat_load_dword v12, v[4:5] offset:28
	flat_load_dword v13, v[6:7] offset:4
	s_waitcnt vmcnt(0) lgkmcnt(0)
	v_dot4c_i32_i8_e32 v17, v12, v13
	s_nop 2
	flat_store_dword v[8:9], v17 offset:228
	flat_load_dword v12, v[4:5] offset:28
	flat_load_dword v13, v[6:7] offset:8
	;; [unrolled: 6-line block ×3, first 2 shown]
	s_waitcnt vmcnt(0) lgkmcnt(0)
	v_dot4c_i32_i8_e32 v19, v12, v13
	s_nop 2
	flat_store_dword v[8:9], v19 offset:236
	flat_load_dword v14, v[0:1] offset:48
	flat_load_dwordx2 v[12:13], v[10:11]
	s_waitcnt vmcnt(0) lgkmcnt(0)
	v_ashrrev_i32_e32 v15, 31, v14
	v_add_co_u32_e32 v12, vcc, v12, v14
	v_addc_co_u32_e32 v13, vcc, v13, v15, vcc
	v_add_co_u32_e32 v16, vcc, s4, v12
	v_addc_co_u32_e32 v17, vcc, 0, v13, vcc
	flat_load_dwordx4 v[12:15], v[16:17] offset:2560
	flat_load_dword v20, v[6:7] offset:16
	s_waitcnt vmcnt(0) lgkmcnt(0)
	flat_store_dwordx4 v[6:7], v[12:15]
	flat_load_dword v21, v[4:5] offset:16
	s_nop 0
	flat_load_dwordx4 v[12:15], v[8:9] offset:144
	flat_load_dwordx4 v[16:19], v[8:9] offset:176
	s_waitcnt vmcnt(0) lgkmcnt(0)
	v_dot4c_i32_i8_e32 v12, v21, v20
	s_nop 2
	flat_store_dword v[8:9], v12 offset:144
	flat_load_dword v12, v[4:5] offset:16
	s_nop 0
	flat_load_dword v20, v[6:7] offset:20
	s_waitcnt vmcnt(0) lgkmcnt(0)
	v_dot4c_i32_i8_e32 v13, v12, v20
	s_nop 2
	flat_store_dword v[8:9], v13 offset:148
	flat_load_dword v12, v[4:5] offset:16
	s_nop 0
	flat_load_dword v13, v[6:7] offset:24
	s_waitcnt vmcnt(0) lgkmcnt(0)
	v_dot4c_i32_i8_e32 v14, v12, v13
	s_nop 2
	flat_store_dword v[8:9], v14 offset:152
	flat_load_dword v12, v[4:5] offset:16
	flat_load_dword v13, v[6:7] offset:28
	s_waitcnt vmcnt(0) lgkmcnt(0)
	v_dot4c_i32_i8_e32 v15, v12, v13
	s_nop 2
	flat_store_dword v[8:9], v15 offset:156
	flat_load_dword v12, v[4:5] offset:20
	;; [unrolled: 6-line block ×6, first 2 shown]
	flat_load_dword v21, v[6:7] offset:16
	flat_load_dwordx4 v[12:15], v[8:9] offset:208
	s_nop 0
	flat_load_dwordx4 v[16:19], v[8:9] offset:240
	s_waitcnt vmcnt(0) lgkmcnt(0)
	v_dot4c_i32_i8_e32 v12, v20, v21
	s_nop 2
	flat_store_dword v[8:9], v12 offset:208
	flat_load_dword v12, v[4:5] offset:24
	s_nop 0
	flat_load_dword v20, v[6:7] offset:20
	s_waitcnt vmcnt(0) lgkmcnt(0)
	v_dot4c_i32_i8_e32 v13, v12, v20
	s_nop 2
	flat_store_dword v[8:9], v13 offset:212
	flat_load_dword v12, v[4:5] offset:24
	s_nop 0
	flat_load_dword v13, v[6:7] offset:24
	s_waitcnt vmcnt(0) lgkmcnt(0)
	v_dot4c_i32_i8_e32 v14, v12, v13
	s_nop 2
	flat_store_dword v[8:9], v14 offset:216
	flat_load_dword v12, v[4:5] offset:24
	flat_load_dword v13, v[6:7] offset:28
	s_waitcnt vmcnt(0) lgkmcnt(0)
	v_dot4c_i32_i8_e32 v15, v12, v13
	s_nop 2
	flat_store_dword v[8:9], v15 offset:220
	flat_load_dword v12, v[4:5] offset:28
	flat_load_dword v13, v[6:7] offset:16
	s_waitcnt vmcnt(0) lgkmcnt(0)
	v_dot4c_i32_i8_e32 v16, v12, v13
	s_nop 2
	flat_store_dword v[8:9], v16 offset:240
	flat_load_dword v12, v[4:5] offset:28
	flat_load_dword v13, v[6:7] offset:20
	s_waitcnt vmcnt(0) lgkmcnt(0)
	v_dot4c_i32_i8_e32 v17, v12, v13
	s_nop 2
	flat_store_dword v[8:9], v17 offset:244
	flat_load_dword v12, v[4:5] offset:28
	flat_load_dword v13, v[6:7] offset:24
	s_waitcnt vmcnt(0) lgkmcnt(0)
	v_dot4c_i32_i8_e32 v18, v12, v13
	s_nop 2
	flat_store_dword v[8:9], v18 offset:248
	flat_load_dword v12, v[4:5] offset:28
	flat_load_dword v13, v[6:7] offset:28
	s_waitcnt vmcnt(0) lgkmcnt(0)
	v_dot4c_i32_i8_e32 v19, v12, v13
	s_nop 2
	flat_store_dword v[8:9], v19 offset:252
	flat_load_dword v14, v[0:1] offset:48
	flat_load_dwordx2 v[12:13], v[10:11]
	s_waitcnt vmcnt(0) lgkmcnt(0)
	v_ashrrev_i32_e32 v15, 31, v14
	v_add_co_u32_e32 v12, vcc, v12, v14
	v_addc_co_u32_e32 v13, vcc, v13, v15, vcc
	v_add_co_u32_e32 v12, vcc, s4, v12
	v_addc_co_u32_e32 v13, vcc, 0, v13, vcc
	flat_load_dwordx4 v[12:15], v[12:13] offset:2816
	s_waitcnt vmcnt(0) lgkmcnt(0)
	flat_store_dwordx4 v[6:7], v[12:15] offset:16
	flat_load_dword v14, v[0:1] offset:16
	s_nop 0
	flat_load_dwordx2 v[12:13], v[2:3]
	s_waitcnt vmcnt(0) lgkmcnt(0)
	v_ashrrev_i32_e32 v15, 31, v14
	v_add_co_u32_e32 v12, vcc, v12, v14
	v_addc_co_u32_e32 v13, vcc, v13, v15, vcc
	v_add_co_u32_e32 v16, vcc, s4, v12
	v_addc_co_u32_e32 v17, vcc, 0, v13, vcc
	flat_load_dwordx4 v[12:15], v[16:17] offset:2816
	flat_load_dword v18, v[4:5]
	s_waitcnt vmcnt(0) lgkmcnt(0)
	flat_store_dwordx4 v[4:5], v[12:15] offset:16
	flat_load_dword v16, v[6:7]
	s_nop 0
	flat_load_dwordx4 v[12:15], v[8:9]
	s_waitcnt vmcnt(0) lgkmcnt(0)
	v_dot4c_i32_i8_e32 v12, v18, v16
	s_nop 2
	flat_store_dword v[8:9], v12
	flat_load_dword v12, v[4:5]
	s_nop 0
	flat_load_dword v16, v[6:7] offset:4
	s_waitcnt vmcnt(0) lgkmcnt(0)
	v_dot4c_i32_i8_e32 v13, v12, v16
	s_nop 2
	flat_store_dword v[8:9], v13 offset:4
	flat_load_dword v12, v[4:5]
	s_nop 0
	flat_load_dword v13, v[6:7] offset:8
	s_waitcnt vmcnt(0) lgkmcnt(0)
	v_dot4c_i32_i8_e32 v14, v12, v13
	s_nop 2
	flat_store_dword v[8:9], v14 offset:8
	flat_load_dword v12, v[4:5]
	flat_load_dword v13, v[6:7] offset:12
	flat_load_dwordx4 v[16:19], v[8:9] offset:32
	s_waitcnt vmcnt(0) lgkmcnt(0)
	v_dot4c_i32_i8_e32 v15, v12, v13
	s_nop 2
	flat_store_dword v[8:9], v15 offset:12
	flat_load_dword v12, v[4:5] offset:4
	flat_load_dword v13, v[6:7]
	s_waitcnt vmcnt(0) lgkmcnt(0)
	v_dot4c_i32_i8_e32 v16, v12, v13
	s_nop 2
	flat_store_dword v[8:9], v16 offset:32
	flat_load_dword v12, v[4:5] offset:4
	flat_load_dword v13, v[6:7] offset:4
	s_waitcnt vmcnt(0) lgkmcnt(0)
	v_dot4c_i32_i8_e32 v17, v12, v13
	s_nop 2
	flat_store_dword v[8:9], v17 offset:36
	flat_load_dword v12, v[4:5] offset:4
	flat_load_dword v13, v[6:7] offset:8
	;; [unrolled: 6-line block ×3, first 2 shown]
	flat_load_dwordx4 v[12:15], v[8:9] offset:64
	s_waitcnt vmcnt(0) lgkmcnt(0)
	v_dot4c_i32_i8_e32 v19, v16, v17
	s_nop 2
	flat_store_dword v[8:9], v19 offset:44
	flat_load_dword v16, v[4:5] offset:8
	flat_load_dword v17, v[6:7]
	s_waitcnt vmcnt(0) lgkmcnt(0)
	v_dot4c_i32_i8_e32 v12, v16, v17
	s_nop 2
	flat_store_dword v[8:9], v12 offset:64
	flat_load_dword v12, v[4:5] offset:8
	s_nop 0
	flat_load_dword v16, v[6:7] offset:4
	s_waitcnt vmcnt(0) lgkmcnt(0)
	v_dot4c_i32_i8_e32 v13, v12, v16
	s_nop 2
	flat_store_dword v[8:9], v13 offset:68
	flat_load_dword v12, v[4:5] offset:8
	s_nop 0
	flat_load_dword v13, v[6:7] offset:8
	s_waitcnt vmcnt(0) lgkmcnt(0)
	v_dot4c_i32_i8_e32 v14, v12, v13
	s_nop 2
	flat_store_dword v[8:9], v14 offset:72
	flat_load_dword v12, v[4:5] offset:8
	flat_load_dword v13, v[6:7] offset:12
	flat_load_dwordx4 v[16:19], v[8:9] offset:96
	s_waitcnt vmcnt(0) lgkmcnt(0)
	v_dot4c_i32_i8_e32 v15, v12, v13
	s_nop 2
	flat_store_dword v[8:9], v15 offset:76
	flat_load_dword v12, v[4:5] offset:12
	flat_load_dword v13, v[6:7]
	s_waitcnt vmcnt(0) lgkmcnt(0)
	v_dot4c_i32_i8_e32 v16, v12, v13
	s_nop 2
	flat_store_dword v[8:9], v16 offset:96
	flat_load_dword v12, v[4:5] offset:12
	flat_load_dword v13, v[6:7] offset:4
	s_waitcnt vmcnt(0) lgkmcnt(0)
	v_dot4c_i32_i8_e32 v17, v12, v13
	s_nop 2
	flat_store_dword v[8:9], v17 offset:100
	flat_load_dword v12, v[4:5] offset:12
	flat_load_dword v13, v[6:7] offset:8
	;; [unrolled: 6-line block ×3, first 2 shown]
	s_waitcnt vmcnt(0) lgkmcnt(0)
	v_dot4c_i32_i8_e32 v19, v12, v13
	s_nop 2
	flat_store_dword v[8:9], v19 offset:108
	flat_load_dword v16, v[4:5]
	flat_load_dword v17, v[6:7] offset:16
	flat_load_dwordx4 v[12:15], v[8:9] offset:16
	s_waitcnt vmcnt(0) lgkmcnt(0)
	v_dot4c_i32_i8_e32 v12, v16, v17
	s_nop 2
	flat_store_dword v[8:9], v12 offset:16
	flat_load_dword v12, v[4:5]
	s_nop 0
	flat_load_dword v16, v[6:7] offset:20
	s_waitcnt vmcnt(0) lgkmcnt(0)
	v_dot4c_i32_i8_e32 v13, v12, v16
	s_nop 2
	flat_store_dword v[8:9], v13 offset:20
	flat_load_dword v12, v[4:5]
	s_nop 0
	flat_load_dword v13, v[6:7] offset:24
	s_waitcnt vmcnt(0) lgkmcnt(0)
	v_dot4c_i32_i8_e32 v14, v12, v13
	s_nop 2
	flat_store_dword v[8:9], v14 offset:24
	flat_load_dword v12, v[4:5]
	flat_load_dword v13, v[6:7] offset:28
	flat_load_dwordx4 v[16:19], v[8:9] offset:48
	s_waitcnt vmcnt(0) lgkmcnt(0)
	v_dot4c_i32_i8_e32 v15, v12, v13
	s_nop 2
	flat_store_dword v[8:9], v15 offset:28
	flat_load_dword v12, v[4:5] offset:4
	flat_load_dword v13, v[6:7] offset:16
	s_waitcnt vmcnt(0) lgkmcnt(0)
	v_dot4c_i32_i8_e32 v16, v12, v13
	s_nop 2
	flat_store_dword v[8:9], v16 offset:48
	flat_load_dword v12, v[4:5] offset:4
	flat_load_dword v13, v[6:7] offset:20
	;; [unrolled: 6-line block ×4, first 2 shown]
	flat_load_dwordx4 v[12:15], v[8:9] offset:80
	s_waitcnt vmcnt(0) lgkmcnt(0)
	v_dot4c_i32_i8_e32 v19, v16, v17
	s_nop 2
	flat_store_dword v[8:9], v19 offset:60
	flat_load_dword v16, v[4:5] offset:8
	flat_load_dword v17, v[6:7] offset:16
	s_waitcnt vmcnt(0) lgkmcnt(0)
	v_dot4c_i32_i8_e32 v12, v16, v17
	s_nop 2
	flat_store_dword v[8:9], v12 offset:80
	flat_load_dword v12, v[4:5] offset:8
	s_nop 0
	flat_load_dword v16, v[6:7] offset:20
	s_waitcnt vmcnt(0) lgkmcnt(0)
	v_dot4c_i32_i8_e32 v13, v12, v16
	s_nop 2
	flat_store_dword v[8:9], v13 offset:84
	flat_load_dword v12, v[4:5] offset:8
	s_nop 0
	flat_load_dword v13, v[6:7] offset:24
	s_waitcnt vmcnt(0) lgkmcnt(0)
	v_dot4c_i32_i8_e32 v14, v12, v13
	s_nop 2
	flat_store_dword v[8:9], v14 offset:88
	flat_load_dword v12, v[4:5] offset:8
	flat_load_dword v13, v[6:7] offset:28
	flat_load_dwordx4 v[16:19], v[8:9] offset:112
	s_waitcnt vmcnt(0) lgkmcnt(0)
	v_dot4c_i32_i8_e32 v15, v12, v13
	s_nop 2
	flat_store_dword v[8:9], v15 offset:92
	flat_load_dword v12, v[4:5] offset:12
	flat_load_dword v13, v[6:7] offset:16
	s_waitcnt vmcnt(0) lgkmcnt(0)
	v_dot4c_i32_i8_e32 v16, v12, v13
	s_nop 2
	flat_store_dword v[8:9], v16 offset:112
	flat_load_dword v12, v[4:5] offset:12
	flat_load_dword v13, v[6:7] offset:20
	;; [unrolled: 6-line block ×4, first 2 shown]
	s_waitcnt vmcnt(0) lgkmcnt(0)
	v_dot4c_i32_i8_e32 v19, v12, v13
	s_nop 2
	flat_store_dword v[8:9], v19 offset:124
	flat_load_dword v14, v[0:1] offset:16
	flat_load_dwordx2 v[12:13], v[2:3]
	s_waitcnt vmcnt(0) lgkmcnt(0)
	v_ashrrev_i32_e32 v15, 31, v14
	v_add_co_u32_e32 v12, vcc, v12, v14
	v_addc_co_u32_e32 v13, vcc, v13, v15, vcc
	v_add_co_u32_e32 v16, vcc, s4, v12
	v_addc_co_u32_e32 v17, vcc, 0, v13, vcc
	flat_load_dwordx4 v[12:15], v[16:17] offset:3072
	flat_load_dword v20, v[4:5] offset:16
	s_waitcnt vmcnt(0) lgkmcnt(0)
	flat_store_dwordx4 v[4:5], v[12:15]
	flat_load_dword v21, v[6:7]
	s_nop 0
	flat_load_dwordx4 v[12:15], v[8:9] offset:128
	flat_load_dwordx4 v[16:19], v[8:9] offset:160
	s_waitcnt vmcnt(0) lgkmcnt(0)
	v_dot4c_i32_i8_e32 v12, v20, v21
	s_nop 2
	flat_store_dword v[8:9], v12 offset:128
	flat_load_dword v12, v[4:5] offset:16
	s_nop 0
	flat_load_dword v20, v[6:7] offset:4
	s_waitcnt vmcnt(0) lgkmcnt(0)
	v_dot4c_i32_i8_e32 v13, v12, v20
	s_nop 2
	flat_store_dword v[8:9], v13 offset:132
	flat_load_dword v12, v[4:5] offset:16
	s_nop 0
	flat_load_dword v13, v[6:7] offset:8
	s_waitcnt vmcnt(0) lgkmcnt(0)
	v_dot4c_i32_i8_e32 v14, v12, v13
	s_nop 2
	flat_store_dword v[8:9], v14 offset:136
	flat_load_dword v12, v[4:5] offset:16
	flat_load_dword v13, v[6:7] offset:12
	s_waitcnt vmcnt(0) lgkmcnt(0)
	v_dot4c_i32_i8_e32 v15, v12, v13
	s_nop 2
	flat_store_dword v[8:9], v15 offset:140
	flat_load_dword v12, v[4:5] offset:20
	flat_load_dword v13, v[6:7]
	s_waitcnt vmcnt(0) lgkmcnt(0)
	v_dot4c_i32_i8_e32 v16, v12, v13
	s_nop 2
	flat_store_dword v[8:9], v16 offset:160
	flat_load_dword v12, v[4:5] offset:20
	flat_load_dword v13, v[6:7] offset:4
	s_waitcnt vmcnt(0) lgkmcnt(0)
	v_dot4c_i32_i8_e32 v17, v12, v13
	s_nop 2
	flat_store_dword v[8:9], v17 offset:164
	flat_load_dword v12, v[4:5] offset:20
	flat_load_dword v13, v[6:7] offset:8
	;; [unrolled: 6-line block ×3, first 2 shown]
	s_waitcnt vmcnt(0) lgkmcnt(0)
	v_dot4c_i32_i8_e32 v19, v12, v13
	s_nop 2
	flat_store_dword v[8:9], v19 offset:172
	flat_load_dword v20, v[4:5] offset:24
	flat_load_dword v21, v[6:7]
	flat_load_dwordx4 v[12:15], v[8:9] offset:192
	s_nop 0
	flat_load_dwordx4 v[16:19], v[8:9] offset:224
	s_waitcnt vmcnt(0) lgkmcnt(0)
	v_dot4c_i32_i8_e32 v12, v20, v21
	s_nop 2
	flat_store_dword v[8:9], v12 offset:192
	flat_load_dword v12, v[4:5] offset:24
	s_nop 0
	flat_load_dword v20, v[6:7] offset:4
	s_waitcnt vmcnt(0) lgkmcnt(0)
	v_dot4c_i32_i8_e32 v13, v12, v20
	s_nop 2
	flat_store_dword v[8:9], v13 offset:196
	flat_load_dword v12, v[4:5] offset:24
	s_nop 0
	flat_load_dword v13, v[6:7] offset:8
	s_waitcnt vmcnt(0) lgkmcnt(0)
	v_dot4c_i32_i8_e32 v14, v12, v13
	s_nop 2
	flat_store_dword v[8:9], v14 offset:200
	flat_load_dword v12, v[4:5] offset:24
	flat_load_dword v13, v[6:7] offset:12
	s_waitcnt vmcnt(0) lgkmcnt(0)
	v_dot4c_i32_i8_e32 v15, v12, v13
	s_nop 2
	flat_store_dword v[8:9], v15 offset:204
	flat_load_dword v12, v[4:5] offset:28
	flat_load_dword v13, v[6:7]
	s_waitcnt vmcnt(0) lgkmcnt(0)
	v_dot4c_i32_i8_e32 v16, v12, v13
	s_nop 2
	flat_store_dword v[8:9], v16 offset:224
	flat_load_dword v12, v[4:5] offset:28
	flat_load_dword v13, v[6:7] offset:4
	s_waitcnt vmcnt(0) lgkmcnt(0)
	v_dot4c_i32_i8_e32 v17, v12, v13
	s_nop 2
	flat_store_dword v[8:9], v17 offset:228
	flat_load_dword v12, v[4:5] offset:28
	flat_load_dword v13, v[6:7] offset:8
	;; [unrolled: 6-line block ×3, first 2 shown]
	s_waitcnt vmcnt(0) lgkmcnt(0)
	v_dot4c_i32_i8_e32 v19, v12, v13
	s_nop 2
	flat_store_dword v[8:9], v19 offset:236
	flat_load_dword v14, v[0:1] offset:48
	flat_load_dwordx2 v[12:13], v[10:11]
	s_waitcnt vmcnt(0) lgkmcnt(0)
	v_ashrrev_i32_e32 v15, 31, v14
	v_add_co_u32_e32 v12, vcc, v12, v14
	v_addc_co_u32_e32 v13, vcc, v13, v15, vcc
	v_add_co_u32_e32 v16, vcc, s4, v12
	v_addc_co_u32_e32 v17, vcc, 0, v13, vcc
	flat_load_dwordx4 v[12:15], v[16:17] offset:3072
	flat_load_dword v20, v[6:7] offset:16
	s_waitcnt vmcnt(0) lgkmcnt(0)
	flat_store_dwordx4 v[6:7], v[12:15]
	flat_load_dword v21, v[4:5] offset:16
	s_nop 0
	flat_load_dwordx4 v[12:15], v[8:9] offset:144
	flat_load_dwordx4 v[16:19], v[8:9] offset:176
	s_waitcnt vmcnt(0) lgkmcnt(0)
	v_dot4c_i32_i8_e32 v12, v21, v20
	s_nop 2
	flat_store_dword v[8:9], v12 offset:144
	flat_load_dword v12, v[4:5] offset:16
	s_nop 0
	flat_load_dword v20, v[6:7] offset:20
	s_waitcnt vmcnt(0) lgkmcnt(0)
	v_dot4c_i32_i8_e32 v13, v12, v20
	s_nop 2
	flat_store_dword v[8:9], v13 offset:148
	flat_load_dword v12, v[4:5] offset:16
	s_nop 0
	flat_load_dword v13, v[6:7] offset:24
	s_waitcnt vmcnt(0) lgkmcnt(0)
	v_dot4c_i32_i8_e32 v14, v12, v13
	s_nop 2
	flat_store_dword v[8:9], v14 offset:152
	flat_load_dword v12, v[4:5] offset:16
	flat_load_dword v13, v[6:7] offset:28
	s_waitcnt vmcnt(0) lgkmcnt(0)
	v_dot4c_i32_i8_e32 v15, v12, v13
	s_nop 2
	flat_store_dword v[8:9], v15 offset:156
	flat_load_dword v12, v[4:5] offset:20
	;; [unrolled: 6-line block ×6, first 2 shown]
	flat_load_dword v21, v[6:7] offset:16
	flat_load_dwordx4 v[12:15], v[8:9] offset:208
	s_nop 0
	flat_load_dwordx4 v[16:19], v[8:9] offset:240
	s_waitcnt vmcnt(0) lgkmcnt(0)
	v_dot4c_i32_i8_e32 v12, v20, v21
	s_nop 2
	flat_store_dword v[8:9], v12 offset:208
	flat_load_dword v12, v[4:5] offset:24
	s_nop 0
	flat_load_dword v20, v[6:7] offset:20
	s_waitcnt vmcnt(0) lgkmcnt(0)
	v_dot4c_i32_i8_e32 v13, v12, v20
	s_nop 2
	flat_store_dword v[8:9], v13 offset:212
	flat_load_dword v12, v[4:5] offset:24
	s_nop 0
	flat_load_dword v13, v[6:7] offset:24
	s_waitcnt vmcnt(0) lgkmcnt(0)
	v_dot4c_i32_i8_e32 v14, v12, v13
	s_nop 2
	flat_store_dword v[8:9], v14 offset:216
	flat_load_dword v12, v[4:5] offset:24
	flat_load_dword v13, v[6:7] offset:28
	s_waitcnt vmcnt(0) lgkmcnt(0)
	v_dot4c_i32_i8_e32 v15, v12, v13
	s_nop 2
	flat_store_dword v[8:9], v15 offset:220
	flat_load_dword v12, v[4:5] offset:28
	;; [unrolled: 6-line block ×6, first 2 shown]
	flat_load_dwordx2 v[12:13], v[10:11]
	s_waitcnt vmcnt(0) lgkmcnt(0)
	v_ashrrev_i32_e32 v15, 31, v14
	v_add_co_u32_e32 v12, vcc, v12, v14
	v_addc_co_u32_e32 v13, vcc, v13, v15, vcc
	v_add_co_u32_e32 v12, vcc, s4, v12
	v_addc_co_u32_e32 v13, vcc, 0, v13, vcc
	flat_load_dwordx4 v[12:15], v[12:13] offset:3328
	s_waitcnt vmcnt(0) lgkmcnt(0)
	flat_store_dwordx4 v[6:7], v[12:15] offset:16
	flat_load_dword v14, v[0:1] offset:16
	s_nop 0
	flat_load_dwordx2 v[12:13], v[2:3]
	s_waitcnt vmcnt(0) lgkmcnt(0)
	v_ashrrev_i32_e32 v15, 31, v14
	v_add_co_u32_e32 v12, vcc, v12, v14
	v_addc_co_u32_e32 v13, vcc, v13, v15, vcc
	v_add_co_u32_e32 v16, vcc, s4, v12
	v_addc_co_u32_e32 v17, vcc, 0, v13, vcc
	flat_load_dwordx4 v[12:15], v[16:17] offset:3328
	flat_load_dword v20, v[4:5]
	s_waitcnt vmcnt(0) lgkmcnt(0)
	flat_store_dwordx4 v[4:5], v[12:15] offset:16
	flat_load_dword v21, v[6:7]
	flat_load_dwordx4 v[16:19], v[8:9]
	s_nop 0
	flat_load_dwordx4 v[12:15], v[8:9] offset:16
	s_waitcnt vmcnt(0) lgkmcnt(0)
	v_dot4c_i32_i8_e32 v16, v20, v21
	s_nop 2
	flat_store_dword v[8:9], v16
	flat_load_dword v16, v[4:5]
	s_nop 0
	flat_load_dword v20, v[6:7] offset:4
	s_waitcnt vmcnt(0) lgkmcnt(0)
	v_dot4c_i32_i8_e32 v17, v16, v20
	s_nop 2
	flat_store_dword v[8:9], v17 offset:4
	flat_load_dword v16, v[4:5]
	s_nop 0
	flat_load_dword v17, v[6:7] offset:8
	s_waitcnt vmcnt(0) lgkmcnt(0)
	v_dot4c_i32_i8_e32 v18, v16, v17
	s_nop 2
	flat_store_dword v[8:9], v18 offset:8
	flat_load_dword v16, v[4:5]
	flat_load_dword v17, v[6:7] offset:12
	s_waitcnt vmcnt(0) lgkmcnt(0)
	v_dot4c_i32_i8_e32 v19, v16, v17
	s_nop 2
	flat_store_dword v[8:9], v19 offset:12
	flat_load_dword v24, v[4:5] offset:4
	flat_load_dword v25, v[6:7]
	s_nop 0
	flat_load_dwordx4 v[16:19], v[8:9] offset:32
	flat_load_dwordx4 v[20:23], v[8:9] offset:48
	s_waitcnt vmcnt(0) lgkmcnt(0)
	v_dot4c_i32_i8_e32 v16, v24, v25
	s_nop 2
	flat_store_dword v[8:9], v16 offset:32
	flat_load_dword v16, v[4:5] offset:4
	s_nop 0
	flat_load_dword v24, v[6:7] offset:4
	s_waitcnt vmcnt(0) lgkmcnt(0)
	v_dot4c_i32_i8_e32 v17, v16, v24
	s_nop 2
	flat_store_dword v[8:9], v17 offset:36
	flat_load_dword v16, v[4:5] offset:4
	s_nop 0
	flat_load_dword v17, v[6:7] offset:8
	s_waitcnt vmcnt(0) lgkmcnt(0)
	v_dot4c_i32_i8_e32 v18, v16, v17
	s_nop 2
	flat_store_dword v[8:9], v18 offset:40
	flat_load_dword v16, v[4:5] offset:4
	flat_load_dword v17, v[6:7] offset:12
	s_waitcnt vmcnt(0) lgkmcnt(0)
	v_dot4c_i32_i8_e32 v19, v16, v17
	s_nop 2
	flat_store_dword v[8:9], v19 offset:44
	flat_load_dword v28, v[4:5] offset:8
	flat_load_dword v29, v[6:7]
	s_nop 0
	flat_load_dwordx4 v[16:19], v[8:9] offset:64
	flat_load_dwordx4 v[24:27], v[8:9] offset:80
	s_waitcnt vmcnt(0) lgkmcnt(0)
	v_dot4c_i32_i8_e32 v16, v28, v29
	s_nop 2
	flat_store_dword v[8:9], v16 offset:64
	flat_load_dword v16, v[4:5] offset:8
	s_nop 0
	flat_load_dword v28, v[6:7] offset:4
	s_waitcnt vmcnt(0) lgkmcnt(0)
	v_dot4c_i32_i8_e32 v17, v16, v28
	s_nop 2
	flat_store_dword v[8:9], v17 offset:68
	flat_load_dword v16, v[4:5] offset:8
	s_nop 0
	flat_load_dword v17, v[6:7] offset:8
	s_waitcnt vmcnt(0) lgkmcnt(0)
	v_dot4c_i32_i8_e32 v18, v16, v17
	s_nop 2
	flat_store_dword v[8:9], v18 offset:72
	flat_load_dword v16, v[4:5] offset:8
	;; [unrolled: 29-line block ×3, first 2 shown]
	flat_load_dword v17, v[6:7] offset:12
	s_waitcnt vmcnt(0) lgkmcnt(0)
	v_dot4c_i32_i8_e32 v19, v16, v17
	s_nop 2
	flat_store_dword v[8:9], v19 offset:108
	flat_load_dword v16, v[4:5]
	flat_load_dword v17, v[6:7] offset:16
	s_waitcnt vmcnt(0) lgkmcnt(0)
	v_dot4c_i32_i8_e32 v12, v16, v17
	s_nop 2
	flat_store_dword v[8:9], v12 offset:16
	flat_load_dword v12, v[4:5]
	s_nop 0
	flat_load_dword v16, v[6:7] offset:20
	s_waitcnt vmcnt(0) lgkmcnt(0)
	v_dot4c_i32_i8_e32 v13, v12, v16
	s_nop 2
	flat_store_dword v[8:9], v13 offset:20
	flat_load_dword v12, v[4:5]
	s_nop 0
	flat_load_dword v13, v[6:7] offset:24
	s_waitcnt vmcnt(0) lgkmcnt(0)
	v_dot4c_i32_i8_e32 v14, v12, v13
	s_nop 2
	flat_store_dword v[8:9], v14 offset:24
	flat_load_dword v12, v[4:5]
	flat_load_dword v13, v[6:7] offset:28
	s_waitcnt vmcnt(0) lgkmcnt(0)
	v_dot4c_i32_i8_e32 v15, v12, v13
	s_nop 2
	flat_store_dword v[8:9], v15 offset:28
	flat_load_dword v12, v[4:5] offset:4
	flat_load_dword v13, v[6:7] offset:16
	s_waitcnt vmcnt(0) lgkmcnt(0)
	v_dot4c_i32_i8_e32 v20, v12, v13
	s_nop 2
	flat_store_dword v[8:9], v20 offset:48
	flat_load_dword v12, v[4:5] offset:4
	;; [unrolled: 6-line block ×13, first 2 shown]
	flat_load_dwordx2 v[12:13], v[2:3]
	s_waitcnt vmcnt(0) lgkmcnt(0)
	v_ashrrev_i32_e32 v15, 31, v14
	v_add_co_u32_e32 v12, vcc, v12, v14
	v_addc_co_u32_e32 v13, vcc, v13, v15, vcc
	v_add_co_u32_e32 v16, vcc, s4, v12
	v_addc_co_u32_e32 v17, vcc, 0, v13, vcc
	flat_load_dwordx4 v[12:15], v[16:17] offset:3584
	flat_load_dword v20, v[4:5] offset:16
	s_waitcnt vmcnt(0) lgkmcnt(0)
	flat_store_dwordx4 v[4:5], v[12:15]
	flat_load_dword v21, v[6:7]
	s_nop 0
	flat_load_dwordx4 v[12:15], v[8:9] offset:128
	flat_load_dwordx4 v[16:19], v[8:9] offset:160
	s_waitcnt vmcnt(0) lgkmcnt(0)
	v_dot4c_i32_i8_e32 v12, v20, v21
	s_nop 2
	flat_store_dword v[8:9], v12 offset:128
	flat_load_dword v12, v[4:5] offset:16
	s_nop 0
	flat_load_dword v20, v[6:7] offset:4
	s_waitcnt vmcnt(0) lgkmcnt(0)
	v_dot4c_i32_i8_e32 v13, v12, v20
	s_nop 2
	flat_store_dword v[8:9], v13 offset:132
	flat_load_dword v12, v[4:5] offset:16
	s_nop 0
	flat_load_dword v13, v[6:7] offset:8
	s_waitcnt vmcnt(0) lgkmcnt(0)
	v_dot4c_i32_i8_e32 v14, v12, v13
	s_nop 2
	flat_store_dword v[8:9], v14 offset:136
	flat_load_dword v12, v[4:5] offset:16
	flat_load_dword v13, v[6:7] offset:12
	s_waitcnt vmcnt(0) lgkmcnt(0)
	v_dot4c_i32_i8_e32 v15, v12, v13
	s_nop 2
	flat_store_dword v[8:9], v15 offset:140
	flat_load_dword v12, v[4:5] offset:20
	flat_load_dword v13, v[6:7]
	s_waitcnt vmcnt(0) lgkmcnt(0)
	v_dot4c_i32_i8_e32 v16, v12, v13
	s_nop 2
	flat_store_dword v[8:9], v16 offset:160
	flat_load_dword v12, v[4:5] offset:20
	flat_load_dword v13, v[6:7] offset:4
	s_waitcnt vmcnt(0) lgkmcnt(0)
	v_dot4c_i32_i8_e32 v17, v12, v13
	s_nop 2
	flat_store_dword v[8:9], v17 offset:164
	flat_load_dword v12, v[4:5] offset:20
	flat_load_dword v13, v[6:7] offset:8
	;; [unrolled: 6-line block ×3, first 2 shown]
	s_waitcnt vmcnt(0) lgkmcnt(0)
	v_dot4c_i32_i8_e32 v19, v12, v13
	s_nop 2
	flat_store_dword v[8:9], v19 offset:172
	flat_load_dword v20, v[4:5] offset:24
	flat_load_dword v21, v[6:7]
	flat_load_dwordx4 v[12:15], v[8:9] offset:192
	s_nop 0
	flat_load_dwordx4 v[16:19], v[8:9] offset:224
	s_waitcnt vmcnt(0) lgkmcnt(0)
	v_dot4c_i32_i8_e32 v12, v20, v21
	s_nop 2
	flat_store_dword v[8:9], v12 offset:192
	flat_load_dword v12, v[4:5] offset:24
	s_nop 0
	flat_load_dword v20, v[6:7] offset:4
	s_waitcnt vmcnt(0) lgkmcnt(0)
	v_dot4c_i32_i8_e32 v13, v12, v20
	s_nop 2
	flat_store_dword v[8:9], v13 offset:196
	flat_load_dword v12, v[4:5] offset:24
	s_nop 0
	flat_load_dword v13, v[6:7] offset:8
	s_waitcnt vmcnt(0) lgkmcnt(0)
	v_dot4c_i32_i8_e32 v14, v12, v13
	s_nop 2
	flat_store_dword v[8:9], v14 offset:200
	flat_load_dword v12, v[4:5] offset:24
	flat_load_dword v13, v[6:7] offset:12
	s_waitcnt vmcnt(0) lgkmcnt(0)
	v_dot4c_i32_i8_e32 v15, v12, v13
	s_nop 2
	flat_store_dword v[8:9], v15 offset:204
	flat_load_dword v12, v[4:5] offset:28
	flat_load_dword v13, v[6:7]
	s_waitcnt vmcnt(0) lgkmcnt(0)
	v_dot4c_i32_i8_e32 v16, v12, v13
	s_nop 2
	flat_store_dword v[8:9], v16 offset:224
	flat_load_dword v12, v[4:5] offset:28
	flat_load_dword v13, v[6:7] offset:4
	s_waitcnt vmcnt(0) lgkmcnt(0)
	v_dot4c_i32_i8_e32 v17, v12, v13
	s_nop 2
	flat_store_dword v[8:9], v17 offset:228
	flat_load_dword v12, v[4:5] offset:28
	flat_load_dword v13, v[6:7] offset:8
	;; [unrolled: 6-line block ×3, first 2 shown]
	s_waitcnt vmcnt(0) lgkmcnt(0)
	v_dot4c_i32_i8_e32 v19, v12, v13
	s_nop 2
	flat_store_dword v[8:9], v19 offset:236
	flat_load_dword v14, v[0:1] offset:48
	flat_load_dwordx2 v[12:13], v[10:11]
	s_waitcnt vmcnt(0) lgkmcnt(0)
	v_ashrrev_i32_e32 v15, 31, v14
	v_add_co_u32_e32 v12, vcc, v12, v14
	v_addc_co_u32_e32 v13, vcc, v13, v15, vcc
	v_add_co_u32_e32 v16, vcc, s4, v12
	v_addc_co_u32_e32 v17, vcc, 0, v13, vcc
	flat_load_dwordx4 v[12:15], v[16:17] offset:3584
	flat_load_dword v20, v[6:7] offset:16
	s_waitcnt vmcnt(0) lgkmcnt(0)
	flat_store_dwordx4 v[6:7], v[12:15]
	flat_load_dword v21, v[4:5] offset:16
	s_nop 0
	flat_load_dwordx4 v[12:15], v[8:9] offset:144
	flat_load_dwordx4 v[16:19], v[8:9] offset:176
	s_waitcnt vmcnt(0) lgkmcnt(0)
	v_dot4c_i32_i8_e32 v12, v21, v20
	s_nop 2
	flat_store_dword v[8:9], v12 offset:144
	flat_load_dword v12, v[4:5] offset:16
	s_nop 0
	flat_load_dword v20, v[6:7] offset:20
	s_waitcnt vmcnt(0) lgkmcnt(0)
	v_dot4c_i32_i8_e32 v13, v12, v20
	s_nop 2
	flat_store_dword v[8:9], v13 offset:148
	flat_load_dword v12, v[4:5] offset:16
	s_nop 0
	flat_load_dword v13, v[6:7] offset:24
	s_waitcnt vmcnt(0) lgkmcnt(0)
	v_dot4c_i32_i8_e32 v14, v12, v13
	s_nop 2
	flat_store_dword v[8:9], v14 offset:152
	flat_load_dword v12, v[4:5] offset:16
	flat_load_dword v13, v[6:7] offset:28
	s_waitcnt vmcnt(0) lgkmcnt(0)
	v_dot4c_i32_i8_e32 v15, v12, v13
	s_nop 2
	flat_store_dword v[8:9], v15 offset:156
	flat_load_dword v12, v[4:5] offset:20
	;; [unrolled: 6-line block ×6, first 2 shown]
	flat_load_dword v21, v[6:7] offset:16
	flat_load_dwordx4 v[12:15], v[8:9] offset:208
	s_nop 0
	flat_load_dwordx4 v[16:19], v[8:9] offset:240
	s_waitcnt vmcnt(0) lgkmcnt(0)
	v_dot4c_i32_i8_e32 v12, v20, v21
	s_nop 2
	flat_store_dword v[8:9], v12 offset:208
	flat_load_dword v12, v[4:5] offset:24
	s_nop 0
	flat_load_dword v20, v[6:7] offset:20
	s_waitcnt vmcnt(0) lgkmcnt(0)
	v_dot4c_i32_i8_e32 v13, v12, v20
	s_nop 2
	flat_store_dword v[8:9], v13 offset:212
	flat_load_dword v12, v[4:5] offset:24
	s_nop 0
	flat_load_dword v13, v[6:7] offset:24
	s_waitcnt vmcnt(0) lgkmcnt(0)
	v_dot4c_i32_i8_e32 v14, v12, v13
	s_nop 2
	flat_store_dword v[8:9], v14 offset:216
	flat_load_dword v12, v[4:5] offset:24
	flat_load_dword v13, v[6:7] offset:28
	s_waitcnt vmcnt(0) lgkmcnt(0)
	v_dot4c_i32_i8_e32 v15, v12, v13
	s_nop 2
	flat_store_dword v[8:9], v15 offset:220
	flat_load_dword v12, v[4:5] offset:28
	;; [unrolled: 6-line block ×6, first 2 shown]
	flat_load_dwordx2 v[12:13], v[10:11]
	s_waitcnt vmcnt(0) lgkmcnt(0)
	v_ashrrev_i32_e32 v10, 31, v14
	v_add_co_u32_e32 v11, vcc, v12, v14
	v_addc_co_u32_e32 v12, vcc, v13, v10, vcc
	v_add_co_u32_e32 v10, vcc, s4, v11
	v_addc_co_u32_e32 v11, vcc, 0, v12, vcc
	flat_load_dwordx4 v[10:13], v[10:11] offset:3840
	s_waitcnt vmcnt(0) lgkmcnt(0)
	flat_store_dwordx4 v[6:7], v[10:13] offset:16
	flat_load_dword v12, v[0:1] offset:16
	s_nop 0
	flat_load_dwordx2 v[10:11], v[2:3]
	s_waitcnt vmcnt(0) lgkmcnt(0)
	v_ashrrev_i32_e32 v0, 31, v12
	v_add_co_u32_e32 v1, vcc, v10, v12
	v_addc_co_u32_e32 v0, vcc, v11, v0, vcc
	v_add_co_u32_e32 v10, vcc, s4, v1
	v_addc_co_u32_e32 v11, vcc, 0, v0, vcc
	flat_load_dwordx4 v[0:3], v[10:11] offset:3840
	flat_load_dword v14, v[4:5]
	s_waitcnt vmcnt(0) lgkmcnt(0)
	flat_store_dwordx4 v[4:5], v[0:3] offset:16
	flat_load_dword v15, v[6:7]
	flat_load_dwordx4 v[10:13], v[8:9]
	s_nop 0
	flat_load_dwordx4 v[0:3], v[8:9] offset:16
	s_waitcnt vmcnt(0) lgkmcnt(0)
	v_dot4c_i32_i8_e32 v10, v14, v15
	s_nop 2
	flat_store_dword v[8:9], v10
	flat_load_dword v10, v[4:5]
	s_nop 0
	flat_load_dword v14, v[6:7] offset:4
	s_waitcnt vmcnt(0) lgkmcnt(0)
	v_dot4c_i32_i8_e32 v11, v10, v14
	s_nop 2
	flat_store_dword v[8:9], v11 offset:4
	flat_load_dword v10, v[4:5]
	s_nop 0
	flat_load_dword v11, v[6:7] offset:8
	s_waitcnt vmcnt(0) lgkmcnt(0)
	v_dot4c_i32_i8_e32 v12, v10, v11
	s_nop 2
	flat_store_dword v[8:9], v12 offset:8
	flat_load_dword v10, v[4:5]
	flat_load_dword v11, v[6:7] offset:12
	s_waitcnt vmcnt(0) lgkmcnt(0)
	v_dot4c_i32_i8_e32 v13, v10, v11
	s_nop 2
	flat_store_dword v[8:9], v13 offset:12
	flat_load_dword v18, v[4:5] offset:4
	flat_load_dword v19, v[6:7]
	s_nop 0
	flat_load_dwordx4 v[10:13], v[8:9] offset:32
	flat_load_dwordx4 v[14:17], v[8:9] offset:48
	s_waitcnt vmcnt(0) lgkmcnt(0)
	v_dot4c_i32_i8_e32 v10, v18, v19
	s_nop 2
	flat_store_dword v[8:9], v10 offset:32
	flat_load_dword v10, v[4:5] offset:4
	s_nop 0
	flat_load_dword v18, v[6:7] offset:4
	s_waitcnt vmcnt(0) lgkmcnt(0)
	v_dot4c_i32_i8_e32 v11, v10, v18
	s_nop 2
	flat_store_dword v[8:9], v11 offset:36
	flat_load_dword v10, v[4:5] offset:4
	s_nop 0
	flat_load_dword v11, v[6:7] offset:8
	s_waitcnt vmcnt(0) lgkmcnt(0)
	v_dot4c_i32_i8_e32 v12, v10, v11
	s_nop 2
	flat_store_dword v[8:9], v12 offset:40
	flat_load_dword v10, v[4:5] offset:4
	flat_load_dword v11, v[6:7] offset:12
	s_waitcnt vmcnt(0) lgkmcnt(0)
	v_dot4c_i32_i8_e32 v13, v10, v11
	s_nop 2
	flat_store_dword v[8:9], v13 offset:44
	flat_load_dword v22, v[4:5] offset:8
	flat_load_dword v23, v[6:7]
	s_nop 0
	flat_load_dwordx4 v[10:13], v[8:9] offset:64
	flat_load_dwordx4 v[18:21], v[8:9] offset:80
	s_waitcnt vmcnt(0) lgkmcnt(0)
	v_dot4c_i32_i8_e32 v10, v22, v23
	s_nop 2
	flat_store_dword v[8:9], v10 offset:64
	flat_load_dword v10, v[4:5] offset:8
	s_nop 0
	flat_load_dword v22, v[6:7] offset:4
	s_waitcnt vmcnt(0) lgkmcnt(0)
	v_dot4c_i32_i8_e32 v11, v10, v22
	s_nop 2
	flat_store_dword v[8:9], v11 offset:68
	flat_load_dword v10, v[4:5] offset:8
	s_nop 0
	flat_load_dword v11, v[6:7] offset:8
	s_waitcnt vmcnt(0) lgkmcnt(0)
	v_dot4c_i32_i8_e32 v12, v10, v11
	s_nop 2
	flat_store_dword v[8:9], v12 offset:72
	flat_load_dword v10, v[4:5] offset:8
	;; [unrolled: 29-line block ×3, first 2 shown]
	flat_load_dword v11, v[6:7] offset:12
	s_waitcnt vmcnt(0) lgkmcnt(0)
	v_dot4c_i32_i8_e32 v13, v10, v11
	s_nop 2
	flat_store_dword v[8:9], v13 offset:108
	flat_load_dword v10, v[4:5]
	flat_load_dword v11, v[6:7] offset:16
	s_waitcnt vmcnt(0) lgkmcnt(0)
	v_dot4c_i32_i8_e32 v0, v10, v11
	s_nop 2
	flat_store_dword v[8:9], v0 offset:16
	flat_load_dword v0, v[4:5]
	s_nop 0
	flat_load_dword v10, v[6:7] offset:20
	s_waitcnt vmcnt(0) lgkmcnt(0)
	v_dot4c_i32_i8_e32 v1, v0, v10
	s_nop 2
	flat_store_dword v[8:9], v1 offset:20
	flat_load_dword v0, v[4:5]
	s_nop 0
	flat_load_dword v1, v[6:7] offset:24
	s_waitcnt vmcnt(0) lgkmcnt(0)
	v_dot4c_i32_i8_e32 v2, v0, v1
	s_nop 2
	flat_store_dword v[8:9], v2 offset:24
	flat_load_dword v0, v[4:5]
	flat_load_dword v1, v[6:7] offset:28
	s_waitcnt vmcnt(0) lgkmcnt(0)
	v_dot4c_i32_i8_e32 v3, v0, v1
	s_nop 2
	flat_store_dword v[8:9], v3 offset:28
	flat_load_dword v0, v[4:5] offset:4
	flat_load_dword v1, v[6:7] offset:16
	s_waitcnt vmcnt(0) lgkmcnt(0)
	v_dot4c_i32_i8_e32 v14, v0, v1
	s_nop 2
	flat_store_dword v[8:9], v14 offset:48
	flat_load_dword v0, v[4:5] offset:4
	;; [unrolled: 6-line block ×12, first 2 shown]
	flat_load_dword v1, v[6:7] offset:28
	s_waitcnt vmcnt(0) lgkmcnt(0)
	v_dot4c_i32_i8_e32 v25, v0, v1
	s_nop 2
	flat_store_dword v[8:9], v25 offset:124
	s_waitcnt vmcnt(0) lgkmcnt(0)
	s_setpc_b64 s[30:31]
.Lfunc_end1:
	.size	_ZNK2ck6detail15static_for_implINS_8SequenceIJLi1ELi2ELi3ELi4ELi5ELi6ELi7ELi8ELi9ELi10ELi11ELi12ELi13ELi14ELi15EEEEEclIZNKS_80BlockwiseGemmDl_A_BK0_BM_BK1_B_BK0_BN_BK1_C_BM0_BM1_BN0_BN1_pipeline_BM0_2_BN0_2ILi256EaaiKNS_16TensorDescriptorINS_5TupleIJNS_5EmbedINS8_IJNS_17integral_constantIiLi16EEENSA_IiLi128EEENSA_IiLi4EEEEEENS8_IJNSA_IiLi512EEESD_NSA_IiLi1EEEEEELb0EEEEEENS8_IJNS2_IJLi0EEEEEEENS8_IJNS2_IJLi1ELi2ELi3EEEEEEESM_NSA_IlLl8192EEEEESQ_Li4ELi4ELi1ENS2_IJLi8ELi2EEEESR_Li4ELi4ELb0EE3RunINS7_INS8_IJNS_7UnMergeINS8_IJNSA_IiLi2EEESD_SV_SD_EEELb0EEEEEESL_NS8_IJNS2_IJLi1ELi2ELi3ELi4EEEEEEESZ_NSA_IlLl64EEEEENS_13DynamicBufferILNS_16AddressSpaceEnumE2EaSO_Lb1ELNS_22AmdBufferCoherenceEnumE0EiEES16_NS_12StaticBufferILS14_4EiLi64ELb1EEEEEvRKT_RKT0_RKT1_RT2_EUlS19_E_EEvS19_, .Lfunc_end1-_ZNK2ck6detail15static_for_implINS_8SequenceIJLi1ELi2ELi3ELi4ELi5ELi6ELi7ELi8ELi9ELi10ELi11ELi12ELi13ELi14ELi15EEEEEclIZNKS_80BlockwiseGemmDl_A_BK0_BM_BK1_B_BK0_BN_BK1_C_BM0_BM1_BN0_BN1_pipeline_BM0_2_BN0_2ILi256EaaiKNS_16TensorDescriptorINS_5TupleIJNS_5EmbedINS8_IJNS_17integral_constantIiLi16EEENSA_IiLi128EEENSA_IiLi4EEEEEENS8_IJNSA_IiLi512EEESD_NSA_IiLi1EEEEEELb0EEEEEENS8_IJNS2_IJLi0EEEEEEENS8_IJNS2_IJLi1ELi2ELi3EEEEEEESM_NSA_IlLl8192EEEEESQ_Li4ELi4ELi1ENS2_IJLi8ELi2EEEESR_Li4ELi4ELb0EE3RunINS7_INS8_IJNS_7UnMergeINS8_IJNSA_IiLi2EEESD_SV_SD_EEELb0EEEEEESL_NS8_IJNS2_IJLi1ELi2ELi3ELi4EEEEEEESZ_NSA_IlLl64EEEEENS_13DynamicBufferILNS_16AddressSpaceEnumE2EaSO_Lb1ELNS_22AmdBufferCoherenceEnumE0EiEES16_NS_12StaticBufferILS14_4EiLi64ELb1EEEEEvRKT_RKT0_RKT1_RT2_EUlS19_E_EEvS19_
                                        ; -- End function
	.section	.AMDGPU.csdata,"",@progbits
; Function info:
; codeLenInByte = 41472
; NumSgprs: 36
; NumVgprs: 34
; NumAgprs: 0
; TotalNumVgprs: 34
; ScratchSize: 0
; MemoryBound: 0
	.section	.text._ZN2ck19kernel_gemm_dl_v1r3INS_28GridwiseGemmDl_km_kn_mn_v1r3ILi256EaiaLNS_25InMemoryDataOperationEnumE0ENS_16TensorDescriptorINS_5TupleIJNS_5EmbedINS4_IJiiEEENS4_IJNS_17integral_constantIiLi1EEEiEEELb0EEENS_7UnMergeINS4_IJiNS7_IiLi4EEEEEELb0EEENS_11PassThroughIiEEEEENS4_IJNS_8SequenceIJLi0EEEENSI_IJLi2EEEENSI_IJLi1EEEEEEENS4_IJNSI_IJLi1ELi2EEEENSI_IJLi3ELi4EEEENSI_IJLi5EEEEEEENSI_IJLi3ELi5ELi4EEEElEENS3_INS4_IJNS5_IS6_NS4_IJiS8_EEELb0EEESE_SG_EEENS4_IJSJ_SL_SK_EEESQ_SR_lEENS3_INS4_IJSU_SG_SG_EEESW_NS4_IJSN_NSI_IJLi3EEEENSI_IJLi4EEEEEEESO_lEELi128ELi128ELi16ELi4ELi4ELi4ELi1ENSI_IJLi8ELi2EEEES13_NSI_IJLi2ELi1ELi4ELi4EEEENSI_IJLi8ELi1ELi32ELi1EEEENSI_IJLi0ELi3ELi1ELi2EEEES16_NSI_IJLi1ELi1ELi4ELi1EEEES16_NSI_IJLi1ELi1ELi4ELi4EEEES14_S15_S16_S16_S17_S16_S18_NSI_IJLi0ELi1ELi2ELi3ELi4ELi5EEEELi5ELi4EEEaaNS3_INS4_IJSA_SE_SG_SG_NSB_INS4_IJiNS7_IiLi128EEEEEELb0EEENSF_ISC_EEEEENS4_IJSJ_SK_SL_SZ_SP_S10_EEENS4_IJSN_SO_SP_NSI_IJLi6EEEENSI_IJLi7ELi8EEEENSI_IJLi9EEEEEEENSI_IJLi6ELi7ELi8ELi9EEEElEENS3_INS4_IJSU_SE_SG_SG_S1D_S1E_EEENS4_IJSJ_SL_SK_SZ_SP_S10_EEES1K_S1L_lEENS3_INS4_IJSU_SG_SG_NSB_INS4_IJiNS7_IiLi2EEENS7_IiLi64EEEEEELb0EEES1T_EEENS4_IJSJ_SL_SK_SZ_S10_EEENS4_IJSN_SZ_S10_NSI_IJLi5ELi6ELi7EEEENSI_IJLi8ELi9ELi10EEEEEEENSI_IJLi5ELi6ELi7ELi8ELi9ELi10EEEElEENS_31BlockToCTileMap_M00_N00_M01_N01ILi128ELi128ES12_Lb0EEELb1ELb1EEEvPKT0_S25_PT1_T2_T3_T4_T5_,"axG",@progbits,_ZN2ck19kernel_gemm_dl_v1r3INS_28GridwiseGemmDl_km_kn_mn_v1r3ILi256EaiaLNS_25InMemoryDataOperationEnumE0ENS_16TensorDescriptorINS_5TupleIJNS_5EmbedINS4_IJiiEEENS4_IJNS_17integral_constantIiLi1EEEiEEELb0EEENS_7UnMergeINS4_IJiNS7_IiLi4EEEEEELb0EEENS_11PassThroughIiEEEEENS4_IJNS_8SequenceIJLi0EEEENSI_IJLi2EEEENSI_IJLi1EEEEEEENS4_IJNSI_IJLi1ELi2EEEENSI_IJLi3ELi4EEEENSI_IJLi5EEEEEEENSI_IJLi3ELi5ELi4EEEElEENS3_INS4_IJNS5_IS6_NS4_IJiS8_EEELb0EEESE_SG_EEENS4_IJSJ_SL_SK_EEESQ_SR_lEENS3_INS4_IJSU_SG_SG_EEESW_NS4_IJSN_NSI_IJLi3EEEENSI_IJLi4EEEEEEESO_lEELi128ELi128ELi16ELi4ELi4ELi4ELi1ENSI_IJLi8ELi2EEEES13_NSI_IJLi2ELi1ELi4ELi4EEEENSI_IJLi8ELi1ELi32ELi1EEEENSI_IJLi0ELi3ELi1ELi2EEEES16_NSI_IJLi1ELi1ELi4ELi1EEEES16_NSI_IJLi1ELi1ELi4ELi4EEEES14_S15_S16_S16_S17_S16_S18_NSI_IJLi0ELi1ELi2ELi3ELi4ELi5EEEELi5ELi4EEEaaNS3_INS4_IJSA_SE_SG_SG_NSB_INS4_IJiNS7_IiLi128EEEEEELb0EEENSF_ISC_EEEEENS4_IJSJ_SK_SL_SZ_SP_S10_EEENS4_IJSN_SO_SP_NSI_IJLi6EEEENSI_IJLi7ELi8EEEENSI_IJLi9EEEEEEENSI_IJLi6ELi7ELi8ELi9EEEElEENS3_INS4_IJSU_SE_SG_SG_S1D_S1E_EEENS4_IJSJ_SL_SK_SZ_SP_S10_EEES1K_S1L_lEENS3_INS4_IJSU_SG_SG_NSB_INS4_IJiNS7_IiLi2EEENS7_IiLi64EEEEEELb0EEES1T_EEENS4_IJSJ_SL_SK_SZ_S10_EEENS4_IJSN_SZ_S10_NSI_IJLi5ELi6ELi7EEEENSI_IJLi8ELi9ELi10EEEEEEENSI_IJLi5ELi6ELi7ELi8ELi9ELi10EEEElEENS_31BlockToCTileMap_M00_N00_M01_N01ILi128ELi128ES12_Lb0EEELb1ELb1EEEvPKT0_S25_PT1_T2_T3_T4_T5_,comdat
	.protected	_ZN2ck19kernel_gemm_dl_v1r3INS_28GridwiseGemmDl_km_kn_mn_v1r3ILi256EaiaLNS_25InMemoryDataOperationEnumE0ENS_16TensorDescriptorINS_5TupleIJNS_5EmbedINS4_IJiiEEENS4_IJNS_17integral_constantIiLi1EEEiEEELb0EEENS_7UnMergeINS4_IJiNS7_IiLi4EEEEEELb0EEENS_11PassThroughIiEEEEENS4_IJNS_8SequenceIJLi0EEEENSI_IJLi2EEEENSI_IJLi1EEEEEEENS4_IJNSI_IJLi1ELi2EEEENSI_IJLi3ELi4EEEENSI_IJLi5EEEEEEENSI_IJLi3ELi5ELi4EEEElEENS3_INS4_IJNS5_IS6_NS4_IJiS8_EEELb0EEESE_SG_EEENS4_IJSJ_SL_SK_EEESQ_SR_lEENS3_INS4_IJSU_SG_SG_EEESW_NS4_IJSN_NSI_IJLi3EEEENSI_IJLi4EEEEEEESO_lEELi128ELi128ELi16ELi4ELi4ELi4ELi1ENSI_IJLi8ELi2EEEES13_NSI_IJLi2ELi1ELi4ELi4EEEENSI_IJLi8ELi1ELi32ELi1EEEENSI_IJLi0ELi3ELi1ELi2EEEES16_NSI_IJLi1ELi1ELi4ELi1EEEES16_NSI_IJLi1ELi1ELi4ELi4EEEES14_S15_S16_S16_S17_S16_S18_NSI_IJLi0ELi1ELi2ELi3ELi4ELi5EEEELi5ELi4EEEaaNS3_INS4_IJSA_SE_SG_SG_NSB_INS4_IJiNS7_IiLi128EEEEEELb0EEENSF_ISC_EEEEENS4_IJSJ_SK_SL_SZ_SP_S10_EEENS4_IJSN_SO_SP_NSI_IJLi6EEEENSI_IJLi7ELi8EEEENSI_IJLi9EEEEEEENSI_IJLi6ELi7ELi8ELi9EEEElEENS3_INS4_IJSU_SE_SG_SG_S1D_S1E_EEENS4_IJSJ_SL_SK_SZ_SP_S10_EEES1K_S1L_lEENS3_INS4_IJSU_SG_SG_NSB_INS4_IJiNS7_IiLi2EEENS7_IiLi64EEEEEELb0EEES1T_EEENS4_IJSJ_SL_SK_SZ_S10_EEENS4_IJSN_SZ_S10_NSI_IJLi5ELi6ELi7EEEENSI_IJLi8ELi9ELi10EEEEEEENSI_IJLi5ELi6ELi7ELi8ELi9ELi10EEEElEENS_31BlockToCTileMap_M00_N00_M01_N01ILi128ELi128ES12_Lb0EEELb1ELb1EEEvPKT0_S25_PT1_T2_T3_T4_T5_ ; -- Begin function _ZN2ck19kernel_gemm_dl_v1r3INS_28GridwiseGemmDl_km_kn_mn_v1r3ILi256EaiaLNS_25InMemoryDataOperationEnumE0ENS_16TensorDescriptorINS_5TupleIJNS_5EmbedINS4_IJiiEEENS4_IJNS_17integral_constantIiLi1EEEiEEELb0EEENS_7UnMergeINS4_IJiNS7_IiLi4EEEEEELb0EEENS_11PassThroughIiEEEEENS4_IJNS_8SequenceIJLi0EEEENSI_IJLi2EEEENSI_IJLi1EEEEEEENS4_IJNSI_IJLi1ELi2EEEENSI_IJLi3ELi4EEEENSI_IJLi5EEEEEEENSI_IJLi3ELi5ELi4EEEElEENS3_INS4_IJNS5_IS6_NS4_IJiS8_EEELb0EEESE_SG_EEENS4_IJSJ_SL_SK_EEESQ_SR_lEENS3_INS4_IJSU_SG_SG_EEESW_NS4_IJSN_NSI_IJLi3EEEENSI_IJLi4EEEEEEESO_lEELi128ELi128ELi16ELi4ELi4ELi4ELi1ENSI_IJLi8ELi2EEEES13_NSI_IJLi2ELi1ELi4ELi4EEEENSI_IJLi8ELi1ELi32ELi1EEEENSI_IJLi0ELi3ELi1ELi2EEEES16_NSI_IJLi1ELi1ELi4ELi1EEEES16_NSI_IJLi1ELi1ELi4ELi4EEEES14_S15_S16_S16_S17_S16_S18_NSI_IJLi0ELi1ELi2ELi3ELi4ELi5EEEELi5ELi4EEEaaNS3_INS4_IJSA_SE_SG_SG_NSB_INS4_IJiNS7_IiLi128EEEEEELb0EEENSF_ISC_EEEEENS4_IJSJ_SK_SL_SZ_SP_S10_EEENS4_IJSN_SO_SP_NSI_IJLi6EEEENSI_IJLi7ELi8EEEENSI_IJLi9EEEEEEENSI_IJLi6ELi7ELi8ELi9EEEElEENS3_INS4_IJSU_SE_SG_SG_S1D_S1E_EEENS4_IJSJ_SL_SK_SZ_SP_S10_EEES1K_S1L_lEENS3_INS4_IJSU_SG_SG_NSB_INS4_IJiNS7_IiLi2EEENS7_IiLi64EEEEEELb0EEES1T_EEENS4_IJSJ_SL_SK_SZ_S10_EEENS4_IJSN_SZ_S10_NSI_IJLi5ELi6ELi7EEEENSI_IJLi8ELi9ELi10EEEEEEENSI_IJLi5ELi6ELi7ELi8ELi9ELi10EEEElEENS_31BlockToCTileMap_M00_N00_M01_N01ILi128ELi128ES12_Lb0EEELb1ELb1EEEvPKT0_S25_PT1_T2_T3_T4_T5_
	.globl	_ZN2ck19kernel_gemm_dl_v1r3INS_28GridwiseGemmDl_km_kn_mn_v1r3ILi256EaiaLNS_25InMemoryDataOperationEnumE0ENS_16TensorDescriptorINS_5TupleIJNS_5EmbedINS4_IJiiEEENS4_IJNS_17integral_constantIiLi1EEEiEEELb0EEENS_7UnMergeINS4_IJiNS7_IiLi4EEEEEELb0EEENS_11PassThroughIiEEEEENS4_IJNS_8SequenceIJLi0EEEENSI_IJLi2EEEENSI_IJLi1EEEEEEENS4_IJNSI_IJLi1ELi2EEEENSI_IJLi3ELi4EEEENSI_IJLi5EEEEEEENSI_IJLi3ELi5ELi4EEEElEENS3_INS4_IJNS5_IS6_NS4_IJiS8_EEELb0EEESE_SG_EEENS4_IJSJ_SL_SK_EEESQ_SR_lEENS3_INS4_IJSU_SG_SG_EEESW_NS4_IJSN_NSI_IJLi3EEEENSI_IJLi4EEEEEEESO_lEELi128ELi128ELi16ELi4ELi4ELi4ELi1ENSI_IJLi8ELi2EEEES13_NSI_IJLi2ELi1ELi4ELi4EEEENSI_IJLi8ELi1ELi32ELi1EEEENSI_IJLi0ELi3ELi1ELi2EEEES16_NSI_IJLi1ELi1ELi4ELi1EEEES16_NSI_IJLi1ELi1ELi4ELi4EEEES14_S15_S16_S16_S17_S16_S18_NSI_IJLi0ELi1ELi2ELi3ELi4ELi5EEEELi5ELi4EEEaaNS3_INS4_IJSA_SE_SG_SG_NSB_INS4_IJiNS7_IiLi128EEEEEELb0EEENSF_ISC_EEEEENS4_IJSJ_SK_SL_SZ_SP_S10_EEENS4_IJSN_SO_SP_NSI_IJLi6EEEENSI_IJLi7ELi8EEEENSI_IJLi9EEEEEEENSI_IJLi6ELi7ELi8ELi9EEEElEENS3_INS4_IJSU_SE_SG_SG_S1D_S1E_EEENS4_IJSJ_SL_SK_SZ_SP_S10_EEES1K_S1L_lEENS3_INS4_IJSU_SG_SG_NSB_INS4_IJiNS7_IiLi2EEENS7_IiLi64EEEEEELb0EEES1T_EEENS4_IJSJ_SL_SK_SZ_S10_EEENS4_IJSN_SZ_S10_NSI_IJLi5ELi6ELi7EEEENSI_IJLi8ELi9ELi10EEEEEEENSI_IJLi5ELi6ELi7ELi8ELi9ELi10EEEElEENS_31BlockToCTileMap_M00_N00_M01_N01ILi128ELi128ES12_Lb0EEELb1ELb1EEEvPKT0_S25_PT1_T2_T3_T4_T5_
	.p2align	8
	.type	_ZN2ck19kernel_gemm_dl_v1r3INS_28GridwiseGemmDl_km_kn_mn_v1r3ILi256EaiaLNS_25InMemoryDataOperationEnumE0ENS_16TensorDescriptorINS_5TupleIJNS_5EmbedINS4_IJiiEEENS4_IJNS_17integral_constantIiLi1EEEiEEELb0EEENS_7UnMergeINS4_IJiNS7_IiLi4EEEEEELb0EEENS_11PassThroughIiEEEEENS4_IJNS_8SequenceIJLi0EEEENSI_IJLi2EEEENSI_IJLi1EEEEEEENS4_IJNSI_IJLi1ELi2EEEENSI_IJLi3ELi4EEEENSI_IJLi5EEEEEEENSI_IJLi3ELi5ELi4EEEElEENS3_INS4_IJNS5_IS6_NS4_IJiS8_EEELb0EEESE_SG_EEENS4_IJSJ_SL_SK_EEESQ_SR_lEENS3_INS4_IJSU_SG_SG_EEESW_NS4_IJSN_NSI_IJLi3EEEENSI_IJLi4EEEEEEESO_lEELi128ELi128ELi16ELi4ELi4ELi4ELi1ENSI_IJLi8ELi2EEEES13_NSI_IJLi2ELi1ELi4ELi4EEEENSI_IJLi8ELi1ELi32ELi1EEEENSI_IJLi0ELi3ELi1ELi2EEEES16_NSI_IJLi1ELi1ELi4ELi1EEEES16_NSI_IJLi1ELi1ELi4ELi4EEEES14_S15_S16_S16_S17_S16_S18_NSI_IJLi0ELi1ELi2ELi3ELi4ELi5EEEELi5ELi4EEEaaNS3_INS4_IJSA_SE_SG_SG_NSB_INS4_IJiNS7_IiLi128EEEEEELb0EEENSF_ISC_EEEEENS4_IJSJ_SK_SL_SZ_SP_S10_EEENS4_IJSN_SO_SP_NSI_IJLi6EEEENSI_IJLi7ELi8EEEENSI_IJLi9EEEEEEENSI_IJLi6ELi7ELi8ELi9EEEElEENS3_INS4_IJSU_SE_SG_SG_S1D_S1E_EEENS4_IJSJ_SL_SK_SZ_SP_S10_EEES1K_S1L_lEENS3_INS4_IJSU_SG_SG_NSB_INS4_IJiNS7_IiLi2EEENS7_IiLi64EEEEEELb0EEES1T_EEENS4_IJSJ_SL_SK_SZ_S10_EEENS4_IJSN_SZ_S10_NSI_IJLi5ELi6ELi7EEEENSI_IJLi8ELi9ELi10EEEEEEENSI_IJLi5ELi6ELi7ELi8ELi9ELi10EEEElEENS_31BlockToCTileMap_M00_N00_M01_N01ILi128ELi128ES12_Lb0EEELb1ELb1EEEvPKT0_S25_PT1_T2_T3_T4_T5_,@function
_ZN2ck19kernel_gemm_dl_v1r3INS_28GridwiseGemmDl_km_kn_mn_v1r3ILi256EaiaLNS_25InMemoryDataOperationEnumE0ENS_16TensorDescriptorINS_5TupleIJNS_5EmbedINS4_IJiiEEENS4_IJNS_17integral_constantIiLi1EEEiEEELb0EEENS_7UnMergeINS4_IJiNS7_IiLi4EEEEEELb0EEENS_11PassThroughIiEEEEENS4_IJNS_8SequenceIJLi0EEEENSI_IJLi2EEEENSI_IJLi1EEEEEEENS4_IJNSI_IJLi1ELi2EEEENSI_IJLi3ELi4EEEENSI_IJLi5EEEEEEENSI_IJLi3ELi5ELi4EEEElEENS3_INS4_IJNS5_IS6_NS4_IJiS8_EEELb0EEESE_SG_EEENS4_IJSJ_SL_SK_EEESQ_SR_lEENS3_INS4_IJSU_SG_SG_EEESW_NS4_IJSN_NSI_IJLi3EEEENSI_IJLi4EEEEEEESO_lEELi128ELi128ELi16ELi4ELi4ELi4ELi1ENSI_IJLi8ELi2EEEES13_NSI_IJLi2ELi1ELi4ELi4EEEENSI_IJLi8ELi1ELi32ELi1EEEENSI_IJLi0ELi3ELi1ELi2EEEES16_NSI_IJLi1ELi1ELi4ELi1EEEES16_NSI_IJLi1ELi1ELi4ELi4EEEES14_S15_S16_S16_S17_S16_S18_NSI_IJLi0ELi1ELi2ELi3ELi4ELi5EEEELi5ELi4EEEaaNS3_INS4_IJSA_SE_SG_SG_NSB_INS4_IJiNS7_IiLi128EEEEEELb0EEENSF_ISC_EEEEENS4_IJSJ_SK_SL_SZ_SP_S10_EEENS4_IJSN_SO_SP_NSI_IJLi6EEEENSI_IJLi7ELi8EEEENSI_IJLi9EEEEEEENSI_IJLi6ELi7ELi8ELi9EEEElEENS3_INS4_IJSU_SE_SG_SG_S1D_S1E_EEENS4_IJSJ_SL_SK_SZ_SP_S10_EEES1K_S1L_lEENS3_INS4_IJSU_SG_SG_NSB_INS4_IJiNS7_IiLi2EEENS7_IiLi64EEEEEELb0EEES1T_EEENS4_IJSJ_SL_SK_SZ_S10_EEENS4_IJSN_SZ_S10_NSI_IJLi5ELi6ELi7EEEENSI_IJLi8ELi9ELi10EEEEEEENSI_IJLi5ELi6ELi7ELi8ELi9ELi10EEEElEENS_31BlockToCTileMap_M00_N00_M01_N01ILi128ELi128ES12_Lb0EEELb1ELb1EEEvPKT0_S25_PT1_T2_T3_T4_T5_: ; @_ZN2ck19kernel_gemm_dl_v1r3INS_28GridwiseGemmDl_km_kn_mn_v1r3ILi256EaiaLNS_25InMemoryDataOperationEnumE0ENS_16TensorDescriptorINS_5TupleIJNS_5EmbedINS4_IJiiEEENS4_IJNS_17integral_constantIiLi1EEEiEEELb0EEENS_7UnMergeINS4_IJiNS7_IiLi4EEEEEELb0EEENS_11PassThroughIiEEEEENS4_IJNS_8SequenceIJLi0EEEENSI_IJLi2EEEENSI_IJLi1EEEEEEENS4_IJNSI_IJLi1ELi2EEEENSI_IJLi3ELi4EEEENSI_IJLi5EEEEEEENSI_IJLi3ELi5ELi4EEEElEENS3_INS4_IJNS5_IS6_NS4_IJiS8_EEELb0EEESE_SG_EEENS4_IJSJ_SL_SK_EEESQ_SR_lEENS3_INS4_IJSU_SG_SG_EEESW_NS4_IJSN_NSI_IJLi3EEEENSI_IJLi4EEEEEEESO_lEELi128ELi128ELi16ELi4ELi4ELi4ELi1ENSI_IJLi8ELi2EEEES13_NSI_IJLi2ELi1ELi4ELi4EEEENSI_IJLi8ELi1ELi32ELi1EEEENSI_IJLi0ELi3ELi1ELi2EEEES16_NSI_IJLi1ELi1ELi4ELi1EEEES16_NSI_IJLi1ELi1ELi4ELi4EEEES14_S15_S16_S16_S17_S16_S18_NSI_IJLi0ELi1ELi2ELi3ELi4ELi5EEEELi5ELi4EEEaaNS3_INS4_IJSA_SE_SG_SG_NSB_INS4_IJiNS7_IiLi128EEEEEELb0EEENSF_ISC_EEEEENS4_IJSJ_SK_SL_SZ_SP_S10_EEENS4_IJSN_SO_SP_NSI_IJLi6EEEENSI_IJLi7ELi8EEEENSI_IJLi9EEEEEEENSI_IJLi6ELi7ELi8ELi9EEEElEENS3_INS4_IJSU_SE_SG_SG_S1D_S1E_EEENS4_IJSJ_SL_SK_SZ_SP_S10_EEES1K_S1L_lEENS3_INS4_IJSU_SG_SG_NSB_INS4_IJiNS7_IiLi2EEENS7_IiLi64EEEEEELb0EEES1T_EEENS4_IJSJ_SL_SK_SZ_S10_EEENS4_IJSN_SZ_S10_NSI_IJLi5ELi6ELi7EEEENSI_IJLi8ELi9ELi10EEEEEEENSI_IJLi5ELi6ELi7ELi8ELi9ELi10EEEElEENS_31BlockToCTileMap_M00_N00_M01_N01ILi128ELi128ES12_Lb0EEELb1ELb1EEEvPKT0_S25_PT1_T2_T3_T4_T5_
; %bb.0:
	s_add_u32 flat_scratch_lo, s6, s9
	s_addc_u32 flat_scratch_hi, s7, 0
	s_load_dwordx4 s[20:23], s[4:5], 0x0
	s_load_dwordx2 s[12:13], s[4:5], 0x10
	s_load_dwordx4 s[28:31], s[4:5], 0x11c
	s_load_dword s34, s[4:5], 0x24
	s_load_dword s47, s[4:5], 0x38
	;; [unrolled: 1-line block ×6, first 2 shown]
	s_load_dwordx2 s[14:15], s[4:5], 0xd0
	s_load_dword s7, s[4:5], 0xec
	s_load_dwordx4 s[36:39], s[4:5], 0x130
	s_load_dword s6, s[4:5], 0xfc
	s_load_dwordx4 s[24:27], s[4:5], 0x108
	s_add_u32 s0, s0, s9
	s_waitcnt lgkmcnt(0)
	s_mul_hi_u32 s4, s31, s8
	s_addc_u32 s1, s1, 0
	s_add_i32 s4, s8, s4
	s_lshr_b32 s4, s4, s39
	s_mul_hi_u32 s5, s4, s30
	s_add_i32 s5, s4, s5
	s_lshr_b32 s9, s5, s38
	s_mul_hi_u32 s11, s9, s29
	;; [unrolled: 3-line block ×3, first 2 shown]
	s_add_i32 s15, s11, s15
	s_lshr_b32 s15, s15, s36
	s_mul_i32 s15, s15, s24
	s_mul_i32 s5, s9, s26
	s_sub_i32 s15, s11, s15
	s_sub_i32 s5, s4, s5
	s_mul_i32 s15, s15, s7
	v_lshrrev_b32_e32 v1, 4, v0
	s_add_i32 s5, s5, s15
	v_and_b32_e32 v4, 14, v1
	v_lshlrev_b32_e32 v1, 2, v0
	v_and_b32_e32 v37, 0x7c, v1
	s_lshl_b32 s5, s5, 7
	v_or_b32_e32 v2, s5, v37
	v_lshlrev_b32_e32 v5, 2, v4
	v_mad_u64_u32 v[2:3], s[16:17], s34, v5, v[2:3]
	v_lshrrev_b32_e32 v3, 5, v0
	v_lshlrev_b32_e32 v0, 1, v0
	v_and_b32_e32 v7, 0x1f8, v0
	v_and_b32_e32 v0, 0x1fc, v0
	v_lshlrev_b32_e32 v6, 6, v3
	v_sub_u32_e32 v0, v0, v7
	v_sub_u32_e32 v6, v7, v6
	v_lshl_add_u32 v36, v3, 3, v0
	v_and_or_b32 v35, v1, 4, v6
	v_mov_b32_e32 v38, 0
	v_lshlrev_b32_e32 v0, 2, v36
	buffer_store_dword v38, off, s[0:3], 0 offset:64
	buffer_store_dword v36, off, s[0:3], 0 offset:68
	;; [unrolled: 1-line block ×12, first 2 shown]
	v_lshlrev_b32_e32 v0, 2, v35
	s_mov_b64 s[16:17], src_shared_base
	buffer_store_dword v0, off, s[0:3], 0 offset:112
	buffer_store_dword v38, off, s[0:3], 0 offset:116
	;; [unrolled: 1-line block ×72, first 2 shown]
	v_mov_b32_e32 v0, s17
	v_mov_b32_e32 v1, 0x4000
	buffer_store_dword v0, off, s[0:3], 0 offset:404
	buffer_store_dword v38, off, s[0:3], 0 offset:400
	buffer_store_byte v38, off, s[0:3], 0 offset:409
	buffer_store_dword v0, off, s[0:3], 0 offset:420
	buffer_store_dword v1, off, s[0:3], 0 offset:416
	buffer_store_byte v38, off, s[0:3], 0 offset:425
	buffer_store_dword v0, off, s[0:3], 0 offset:436
	v_mov_b32_e32 v1, 0x2000
	buffer_store_dword v1, off, s[0:3], 0 offset:432
	buffer_store_byte v38, off, s[0:3], 0 offset:441
	buffer_store_dword v0, off, s[0:3], 0 offset:452
	v_mov_b32_e32 v0, 0x6000
	buffer_store_dword v0, off, s[0:3], 0 offset:448
	buffer_store_byte v38, off, s[0:3], 0 offset:457
	s_mov_b32 s19, 0x20000
	s_mov_b32 s16, s20
	;; [unrolled: 1-line block ×3, first 2 shown]
	v_add_u32_e32 v1, s34, v2
	buffer_load_dword v3, v2, s[16:19], 0 offen
	buffer_load_dword v6, v1, s[16:19], 0 offen
	v_add_u32_e32 v0, s34, v1
	v_add_u32_e32 v7, s34, v0
	buffer_load_dword v8, v0, s[16:19], 0 offen
	buffer_load_dword v9, v7, s[16:19], 0 offen
	s_mul_i32 s11, s11, s25
	s_lshl_b32 s38, s34, 2
	s_mul_i32 s4, s4, s27
	s_sub_i32 s7, s9, s11
	v_add_u32_e32 v7, s38, v7
	s_sub_i32 s4, s8, s4
	s_mul_i32 s7, s7, s6
	v_add_u32_e32 v0, s38, v0
	buffer_load_dword v10, v7, s[16:19], 0 offen
	buffer_load_dword v11, v0, s[16:19], 0 offen
	s_add_i32 s4, s4, s7
	s_lshl_b32 s15, s4, 7
	v_add_u32_e32 v1, s38, v1
	v_or_b32_e32 v0, s15, v37
	v_add_u32_e32 v2, s38, v2
	buffer_load_dword v7, v1, s[16:19], 0 offen
	buffer_load_dword v12, v2, s[16:19], 0 offen
	v_mad_u64_u32 v[0:1], s[6:7], s35, v5, v[0:1]
	s_mov_b32 s8, s22
	s_mov_b32 s9, s23
	;; [unrolled: 1-line block ×3, first 2 shown]
	v_add_u32_e32 v1, s35, v0
	buffer_load_dword v13, v0, s[8:11], 0 offen
	buffer_load_dword v14, v1, s[8:11], 0 offen
	v_add_u32_e32 v2, s35, v1
	v_add_u32_e32 v15, s35, v2
	buffer_load_dword v16, v2, s[8:11], 0 offen
	buffer_load_dword v17, v15, s[8:11], 0 offen
	s_lshl_b32 s39, s35, 2
	v_add_u32_e32 v15, s39, v15
	v_add_u32_e32 v2, s39, v2
	buffer_load_dword v18, v15, s[8:11], 0 offen
	buffer_load_dword v19, v2, s[8:11], 0 offen
	v_add_u32_e32 v1, s39, v1
	v_add_u32_e32 v0, s39, v0
	buffer_load_dword v15, v1, s[8:11], 0 offen
	buffer_load_dword v20, v0, s[8:11], 0 offen
	s_movk_i32 s42, 0xff00
	v_lshlrev_b32_e32 v0, 2, v37
	s_movk_i32 s41, 0xff
	v_mov_b32_e32 v47, 8
	v_lshl_or_b32 v34, v4, 9, v0
	s_mov_b64 s[6:7], src_private_base
	s_mov_b32 s25, 64
	s_movk_i32 s6, 0x90
	s_mov_b32 s22, s7
	s_movk_i32 s36, 0x190
	;; [unrolled: 2-line block ×5, first 2 shown]
	s_mov_b32 s24, s7
	s_mov_b32 s40, 0
	;; [unrolled: 1-line block ×6, first 2 shown]
	s_sub_i32 s47, s47, 32
	s_lshl_b32 s48, s35, 7
	s_lshl_b32 s49, s34, 7
	s_movk_i32 s32, 0x7800
	s_waitcnt vmcnt(15)
	v_and_b32_sdwa v0, v3, s41 dst_sel:DWORD dst_unused:UNUSED_PAD src0_sel:WORD_1 src1_sel:DWORD
	s_waitcnt vmcnt(14)
	v_and_b32_sdwa v1, v6, s42 dst_sel:DWORD dst_unused:UNUSED_PAD src0_sel:WORD_1 src1_sel:DWORD
	v_or_b32_sdwa v4, v3, v1 dst_sel:DWORD dst_unused:UNUSED_PAD src0_sel:BYTE_3 src1_sel:DWORD
	v_lshlrev_b16_sdwa v1, v47, v6 dst_sel:DWORD dst_unused:UNUSED_PAD src0_sel:DWORD src1_sel:WORD_1
	v_or_b32_e32 v2, v0, v1
	v_and_b32_e32 v0, 0xffffff00, v6
	v_or_b32_sdwa v1, v3, v0 dst_sel:DWORD dst_unused:UNUSED_PAD src0_sel:BYTE_1 src1_sel:DWORD
	s_waitcnt vmcnt(13)
	v_and_b32_sdwa v0, v8, s41 dst_sel:DWORD dst_unused:UNUSED_PAD src0_sel:WORD_1 src1_sel:DWORD
	s_waitcnt vmcnt(12)
	v_lshlrev_b16_sdwa v22, v47, v9 dst_sel:DWORD dst_unused:UNUSED_PAD src0_sel:DWORD src1_sel:WORD_1
	v_or_b32_sdwa v22, v0, v22 dst_sel:WORD_1 dst_unused:UNUSED_PAD src0_sel:DWORD src1_sel:DWORD
	v_and_b32_e32 v0, 0xffffff00, v9
	v_or_b32_sdwa v23, v8, v0 dst_sel:WORD_1 dst_unused:UNUSED_PAD src0_sel:BYTE_1 src1_sel:DWORD
	s_waitcnt vmcnt(11)
	v_and_b32_sdwa v0, v10, s42 dst_sel:DWORD dst_unused:UNUSED_PAD src0_sel:WORD_1 src1_sel:DWORD
	s_waitcnt vmcnt(10)
	v_or_b32_sdwa v24, v11, v0 dst_sel:WORD_1 dst_unused:UNUSED_PAD src0_sel:BYTE_3 src1_sel:DWORD
	v_lshlrev_b16_sdwa v0, v47, v10 dst_sel:DWORD dst_unused:UNUSED_PAD src0_sel:DWORD src1_sel:WORD_1
	v_and_b32_sdwa v25, v11, s41 dst_sel:DWORD dst_unused:UNUSED_PAD src0_sel:WORD_1 src1_sel:DWORD
	v_or_b32_sdwa v25, v25, v0 dst_sel:WORD_1 dst_unused:UNUSED_PAD src0_sel:DWORD src1_sel:DWORD
	v_and_b32_e32 v0, 0xffffff00, v10
	v_or_b32_sdwa v26, v11, v0 dst_sel:WORD_1 dst_unused:UNUSED_PAD src0_sel:BYTE_1 src1_sel:DWORD
	s_waitcnt vmcnt(9)
	v_and_b32_sdwa v0, v7, s42 dst_sel:DWORD dst_unused:UNUSED_PAD src0_sel:WORD_1 src1_sel:DWORD
	s_waitcnt vmcnt(8)
	v_or_b32_sdwa v27, v12, v0 dst_sel:DWORD dst_unused:UNUSED_PAD src0_sel:BYTE_3 src1_sel:DWORD
	v_lshlrev_b16_sdwa v0, v47, v7 dst_sel:DWORD dst_unused:UNUSED_PAD src0_sel:DWORD src1_sel:WORD_1
	v_and_b32_sdwa v28, v12, s41 dst_sel:DWORD dst_unused:UNUSED_PAD src0_sel:WORD_1 src1_sel:DWORD
	v_or_b32_e32 v28, v28, v0
	v_and_b32_e32 v0, 0xffffff00, v7
	v_or_b32_sdwa v29, v12, v0 dst_sel:DWORD dst_unused:UNUSED_PAD src0_sel:BYTE_1 src1_sel:DWORD
	s_waitcnt vmcnt(7)
	v_and_b32_sdwa v0, v13, s41 dst_sel:DWORD dst_unused:UNUSED_PAD src0_sel:WORD_1 src1_sel:DWORD
	s_waitcnt vmcnt(6)
	v_lshlrev_b16_sdwa v31, v47, v14 dst_sel:DWORD dst_unused:UNUSED_PAD src0_sel:DWORD src1_sel:WORD_1
	v_or_b32_e32 v31, v0, v31
	v_and_b32_e32 v0, 0xffffff00, v14
	v_or_b32_sdwa v32, v13, v0 dst_sel:DWORD dst_unused:UNUSED_PAD src0_sel:BYTE_1 src1_sel:DWORD
	s_waitcnt vmcnt(5)
	v_and_b32_sdwa v0, v16, s41 dst_sel:DWORD dst_unused:UNUSED_PAD src0_sel:WORD_1 src1_sel:DWORD
	s_waitcnt vmcnt(4)
	v_lshlrev_b16_sdwa v39, v47, v17 dst_sel:DWORD dst_unused:UNUSED_PAD src0_sel:DWORD src1_sel:WORD_1
	v_or_b32_sdwa v39, v0, v39 dst_sel:WORD_1 dst_unused:UNUSED_PAD src0_sel:DWORD src1_sel:DWORD
	v_and_b32_e32 v0, 0xffffff00, v17
	v_or_b32_sdwa v40, v16, v0 dst_sel:WORD_1 dst_unused:UNUSED_PAD src0_sel:BYTE_1 src1_sel:DWORD
	s_waitcnt vmcnt(3)
	v_and_b32_sdwa v0, v18, s42 dst_sel:DWORD dst_unused:UNUSED_PAD src0_sel:WORD_1 src1_sel:DWORD
	s_waitcnt vmcnt(2)
	v_or_b32_sdwa v41, v19, v0 dst_sel:WORD_1 dst_unused:UNUSED_PAD src0_sel:BYTE_3 src1_sel:DWORD
	v_lshlrev_b16_sdwa v0, v47, v18 dst_sel:DWORD dst_unused:UNUSED_PAD src0_sel:DWORD src1_sel:WORD_1
	v_and_b32_sdwa v42, v19, s41 dst_sel:DWORD dst_unused:UNUSED_PAD src0_sel:WORD_1 src1_sel:DWORD
	v_or_b32_sdwa v42, v42, v0 dst_sel:WORD_1 dst_unused:UNUSED_PAD src0_sel:DWORD src1_sel:DWORD
	v_and_b32_e32 v0, 0xffffff00, v18
	v_or_b32_sdwa v43, v19, v0 dst_sel:WORD_1 dst_unused:UNUSED_PAD src0_sel:BYTE_1 src1_sel:DWORD
	s_waitcnt vmcnt(1)
	v_and_b32_sdwa v0, v15, s42 dst_sel:DWORD dst_unused:UNUSED_PAD src0_sel:WORD_1 src1_sel:DWORD
	s_waitcnt vmcnt(0)
	v_or_b32_sdwa v44, v20, v0 dst_sel:DWORD dst_unused:UNUSED_PAD src0_sel:BYTE_3 src1_sel:DWORD
	v_lshlrev_b16_sdwa v0, v47, v15 dst_sel:DWORD dst_unused:UNUSED_PAD src0_sel:DWORD src1_sel:WORD_1
	v_and_b32_sdwa v45, v20, s41 dst_sel:DWORD dst_unused:UNUSED_PAD src0_sel:WORD_1 src1_sel:DWORD
	v_or_b32_e32 v45, v45, v0
	v_and_b32_e32 v0, 0xffffff00, v15
	v_or_b32_sdwa v46, v20, v0 dst_sel:DWORD dst_unused:UNUSED_PAD src0_sel:BYTE_1 src1_sel:DWORD
	v_lshlrev_b16_e32 v0, 8, v6
	v_and_b32_sdwa v21, v9, s42 dst_sel:DWORD dst_unused:UNUSED_PAD src0_sel:WORD_1 src1_sel:DWORD
	v_or_b32_sdwa v0, v3, v0 dst_sel:DWORD dst_unused:UNUSED_PAD src0_sel:BYTE_0 src1_sel:DWORD
	v_lshlrev_b16_e32 v3, 8, v9
	v_or_b32_sdwa v21, v8, v21 dst_sel:WORD_1 dst_unused:UNUSED_PAD src0_sel:BYTE_3 src1_sel:DWORD
	v_or_b32_sdwa v3, v8, v3 dst_sel:WORD_1 dst_unused:UNUSED_PAD src0_sel:BYTE_0 src1_sel:DWORD
	v_or_b32_sdwa v0, v0, v3 dst_sel:DWORD dst_unused:UNUSED_PAD src0_sel:WORD_0 src1_sel:DWORD
	v_or_b32_sdwa v1, v1, v23 dst_sel:DWORD dst_unused:UNUSED_PAD src0_sel:WORD_0 src1_sel:DWORD
	;; [unrolled: 1-line block ×4, first 2 shown]
	ds_write_b128 v34, v[0:3]
	v_lshlrev_b16_e32 v0, 8, v7
	v_lshlrev_b16_e32 v1, 8, v10
	v_or_b32_sdwa v0, v12, v0 dst_sel:DWORD dst_unused:UNUSED_PAD src0_sel:BYTE_0 src1_sel:DWORD
	v_or_b32_sdwa v1, v11, v1 dst_sel:WORD_1 dst_unused:UNUSED_PAD src0_sel:BYTE_0 src1_sel:DWORD
	v_or_b32_sdwa v0, v0, v1 dst_sel:DWORD dst_unused:UNUSED_PAD src0_sel:WORD_0 src1_sel:DWORD
	v_or_b32_sdwa v1, v29, v26 dst_sel:DWORD dst_unused:UNUSED_PAD src0_sel:WORD_0 src1_sel:DWORD
	;; [unrolled: 1-line block ×4, first 2 shown]
	v_and_b32_sdwa v30, v14, s42 dst_sel:DWORD dst_unused:UNUSED_PAD src0_sel:WORD_1 src1_sel:DWORD
	v_and_b32_sdwa v33, v17, s42 dst_sel:DWORD dst_unused:UNUSED_PAD src0_sel:WORD_1 src1_sel:DWORD
	ds_write_b128 v34, v[0:3] offset:512
	v_lshlrev_b16_e32 v0, 8, v14
	v_lshlrev_b16_e32 v1, 8, v17
	v_or_b32_sdwa v30, v13, v30 dst_sel:DWORD dst_unused:UNUSED_PAD src0_sel:BYTE_3 src1_sel:DWORD
	v_or_b32_sdwa v33, v16, v33 dst_sel:WORD_1 dst_unused:UNUSED_PAD src0_sel:BYTE_3 src1_sel:DWORD
	v_or_b32_sdwa v0, v13, v0 dst_sel:DWORD dst_unused:UNUSED_PAD src0_sel:BYTE_0 src1_sel:DWORD
	v_or_b32_sdwa v1, v16, v1 dst_sel:WORD_1 dst_unused:UNUSED_PAD src0_sel:BYTE_0 src1_sel:DWORD
	v_or_b32_sdwa v0, v0, v1 dst_sel:DWORD dst_unused:UNUSED_PAD src0_sel:WORD_0 src1_sel:DWORD
	v_or_b32_sdwa v1, v32, v40 dst_sel:DWORD dst_unused:UNUSED_PAD src0_sel:WORD_0 src1_sel:DWORD
	;; [unrolled: 1-line block ×4, first 2 shown]
	ds_write_b128 v34, v[0:3] offset:16384
	v_lshlrev_b16_e32 v0, 8, v15
	v_lshlrev_b16_e32 v1, 8, v18
	v_or_b32_sdwa v0, v20, v0 dst_sel:DWORD dst_unused:UNUSED_PAD src0_sel:BYTE_0 src1_sel:DWORD
	v_or_b32_sdwa v1, v19, v1 dst_sel:WORD_1 dst_unused:UNUSED_PAD src0_sel:BYTE_0 src1_sel:DWORD
	v_or_b32_sdwa v0, v0, v1 dst_sel:DWORD dst_unused:UNUSED_PAD src0_sel:WORD_0 src1_sel:DWORD
	v_or_b32_sdwa v1, v46, v43 dst_sel:DWORD dst_unused:UNUSED_PAD src0_sel:WORD_0 src1_sel:DWORD
	;; [unrolled: 1-line block ×4, first 2 shown]
	ds_write_b128 v34, v[0:3] offset:16896
	v_or_b32_e32 v0, 7, v5
	v_mul_lo_u32 v1, s35, v0
	v_add_u32_e32 v39, s15, v1
	v_or_b32_e32 v1, 6, v5
	v_mul_lo_u32 v2, s35, v1
	v_add_u32_e32 v40, s15, v2
	v_or_b32_e32 v2, 5, v5
	v_mul_lo_u32 v3, s35, v2
	v_add_u32_e32 v41, s15, v3
	v_or_b32_e32 v3, 4, v5
	v_mul_lo_u32 v4, s35, v3
	v_add_u32_e32 v42, s15, v4
	v_or_b32_e32 v4, 0x84, v5
	v_mul_lo_u32 v6, s35, v4
	v_add_u32_e32 v48, s15, v6
	v_or_b32_e32 v6, 0x85, v5
	v_mul_lo_u32 v7, s35, v6
	v_add_u32_e32 v49, s15, v7
	v_or_b32_e32 v7, 0x86, v5
	v_mul_lo_u32 v8, s35, v7
	v_add_u32_e32 v50, s15, v8
	v_or_b32_e32 v8, 0x87, v5
	v_mul_lo_u32 v9, s35, v8
	v_add_u32_e32 v51, s15, v9
	v_or_b32_e32 v9, 0x83, v5
	v_mul_lo_u32 v10, s35, v9
	v_add_u32_e32 v52, s15, v10
	v_or_b32_e32 v10, 0x82, v5
	v_mul_lo_u32 v11, s35, v10
	v_mul_lo_u32 v0, s34, v0
	v_add_u32_e32 v53, s15, v11
	v_or_b32_e32 v11, 0x81, v5
	v_add_u32_e32 v43, s5, v0
	v_mul_lo_u32 v0, s34, v1
	v_mul_lo_u32 v12, s35, v11
	v_add_u32_e32 v44, s5, v0
	v_mul_lo_u32 v0, s34, v2
	v_add_u32_e32 v54, s15, v12
	v_or_b32_e32 v12, 0x80, v5
	v_add_u32_e32 v45, s5, v0
	v_mul_lo_u32 v0, s34, v3
	v_mul_lo_u32 v13, s35, v12
	v_add_u32_e32 v46, s5, v0
	;; [unrolled: 7-line block ×8, first 2 shown]
	v_mul_lo_u32 v0, s34, v17
	v_add_u32_e32 v61, s15, v19
	v_or_b32_e32 v19, 0x41, v5
	v_add_u32_e32 v76, s5, v0
	v_mul_lo_u32 v0, s34, v18
	v_mul_lo_u32 v20, s35, v19
	v_or_b32_e32 v5, 64, v5
	v_add_u32_e32 v77, s5, v0
	v_mul_lo_u32 v0, s34, v19
	v_add_u32_e32 v62, s15, v20
	v_mul_lo_u32 v20, s35, v5
	;; [unrolled: 2-line block ×3, first 2 shown]
	v_add_u32_e32 v63, s15, v20
	v_add_u32_e32 v79, s5, v0
.LBB2_1:                                ; =>This Inner Loop Header: Depth=1
	v_add_u32_e32 v0, v37, v79
	v_add_u32_e32 v2, v37, v78
	;; [unrolled: 1-line block ×9, first 2 shown]
	buffer_load_dword v88, v0, s[16:19], 0 offen
	buffer_load_dword v90, v2, s[16:19], 0 offen
	;; [unrolled: 1-line block ×8, first 2 shown]
	v_add_u32_e32 v0, v37, v62
	v_add_u32_e32 v2, v37, v61
	;; [unrolled: 1-line block ×7, first 2 shown]
	buffer_load_dword v80, v1, s[8:11], 0 offen
	buffer_load_dword v94, v0, s[8:11], 0 offen
	;; [unrolled: 1-line block ×8, first 2 shown]
	s_waitcnt lgkmcnt(0)
	s_barrier
	buffer_load_dword v0, off, s[0:3], 0 offset:80
	buffer_load_dword v1, off, s[0:3], 0 offset:400
	;; [unrolled: 1-line block ×3, first 2 shown]
	s_nop 0
	buffer_store_dword v38, off, s[0:3], 0
	buffer_store_dword v38, off, s[0:3], 0 offset:4
	buffer_store_dword v38, off, s[0:3], 0 offset:8
	;; [unrolled: 1-line block ×15, first 2 shown]
	buffer_load_dword v4, off, s[0:3], 0 offset:112
	buffer_load_dword v5, off, s[0:3], 0 offset:416
	;; [unrolled: 1-line block ×13, first 2 shown]
	s_getpc_b64 s[20:21]
	s_add_u32 s20, s20, _ZNK2ck6detail15static_for_implINS_8SequenceIJLi1ELi2ELi3ELi4ELi5ELi6ELi7ELi8ELi9ELi10ELi11ELi12ELi13ELi14ELi15EEEEEclIZNKS_80BlockwiseGemmDl_A_BK0_BM_BK1_B_BK0_BN_BK1_C_BM0_BM1_BN0_BN1_pipeline_BM0_2_BN0_2ILi256EaaiKNS_16TensorDescriptorINS_5TupleIJNS_5EmbedINS8_IJNS_17integral_constantIiLi16EEENSA_IiLi128EEENSA_IiLi4EEEEEENS8_IJNSA_IiLi512EEESD_NSA_IiLi1EEEEEELb0EEEEEENS8_IJNS2_IJLi0EEEEEEENS8_IJNS2_IJLi1ELi2ELi3EEEEEEESM_NSA_IlLl8192EEEEESQ_Li4ELi4ELi1ENS2_IJLi8ELi2EEEESR_Li4ELi4ELb0EE3RunINS7_INS8_IJNS_7UnMergeINS8_IJNSA_IiLi2EEESD_SV_SD_EEELb0EEEEEESL_NS8_IJNS2_IJLi1ELi2ELi3ELi4EEEEEEESZ_NSA_IlLl64EEEEENS_13DynamicBufferILNS_16AddressSpaceEnumE2EaSO_Lb1ELNS_22AmdBufferCoherenceEnumE0EiEES16_NS_12StaticBufferILS14_4EiLi64ELb1EEEEEvRKT_RKT0_RKT1_RT2_EUlS19_E_EEvS19_@rel32@lo+4
	s_addc_u32 s21, s21, _ZNK2ck6detail15static_for_implINS_8SequenceIJLi1ELi2ELi3ELi4ELi5ELi6ELi7ELi8ELi9ELi10ELi11ELi12ELi13ELi14ELi15EEEEEclIZNKS_80BlockwiseGemmDl_A_BK0_BM_BK1_B_BK0_BN_BK1_C_BM0_BM1_BN0_BN1_pipeline_BM0_2_BN0_2ILi256EaaiKNS_16TensorDescriptorINS_5TupleIJNS_5EmbedINS8_IJNS_17integral_constantIiLi16EEENSA_IiLi128EEENSA_IiLi4EEEEEENS8_IJNSA_IiLi512EEESD_NSA_IiLi1EEEEEELb0EEEEEENS8_IJNS2_IJLi0EEEEEEENS8_IJNS2_IJLi1ELi2ELi3EEEEEEESM_NSA_IlLl8192EEEEESQ_Li4ELi4ELi1ENS2_IJLi8ELi2EEEESR_Li4ELi4ELb0EE3RunINS7_INS8_IJNS_7UnMergeINS8_IJNSA_IiLi2EEESD_SV_SD_EEELb0EEEEEESL_NS8_IJNS2_IJLi1ELi2ELi3ELi4EEEEEEESZ_NSA_IlLl64EEEEENS_13DynamicBufferILNS_16AddressSpaceEnumE2EaSO_Lb1ELNS_22AmdBufferCoherenceEnumE0EiEES16_NS_12StaticBufferILS14_4EiLi64ELb1EEEEEvRKT_RKT0_RKT1_RT2_EUlS19_E_EEvS19_@rel32@hi+12
	s_waitcnt vmcnt(0)
	v_and_b32_sdwa v14, v88, s41 dst_sel:DWORD dst_unused:UNUSED_PAD src0_sel:WORD_1 src1_sel:DWORD
	s_waitcnt vmcnt(46)
	v_and_b32_sdwa v15, v90, s42 dst_sel:DWORD dst_unused:UNUSED_PAD src0_sel:WORD_1 src1_sel:DWORD
	v_lshlrev_b16_sdwa v110, v47, v90 dst_sel:DWORD dst_unused:UNUSED_PAD src0_sel:DWORD src1_sel:WORD_1
	v_or_b32_sdwa v140, v88, v15 dst_sel:DWORD dst_unused:UNUSED_PAD src0_sel:BYTE_3 src1_sel:DWORD
	v_or_b32_e32 v110, v14, v110
	v_and_b32_e32 v111, 0xffffff00, v90
	s_waitcnt vmcnt(45)
	v_and_b32_sdwa v112, v89, s41 dst_sel:DWORD dst_unused:UNUSED_PAD src0_sel:WORD_1 src1_sel:DWORD
	s_waitcnt vmcnt(44)
	v_and_b32_sdwa v113, v91, s42 dst_sel:DWORD dst_unused:UNUSED_PAD src0_sel:WORD_1 src1_sel:DWORD
	s_waitcnt vmcnt(12)
	v_ashrrev_i32_e32 v7, 31, v4
	v_lshlrev_b16_sdwa v114, v47, v91 dst_sel:DWORD dst_unused:UNUSED_PAD src0_sel:DWORD src1_sel:WORD_1
	v_and_b32_e32 v115, 0xffffff00, v91
	v_and_b32_sdwa v116, v84, s42 dst_sel:DWORD dst_unused:UNUSED_PAD src0_sel:WORD_1 src1_sel:DWORD
	v_lshlrev_b16_sdwa v117, v47, v84 dst_sel:DWORD dst_unused:UNUSED_PAD src0_sel:DWORD src1_sel:WORD_1
	v_and_b32_sdwa v118, v85, s41 dst_sel:DWORD dst_unused:UNUSED_PAD src0_sel:WORD_1 src1_sel:DWORD
	v_and_b32_e32 v119, 0xffffff00, v84
	v_and_b32_sdwa v120, v86, s42 dst_sel:DWORD dst_unused:UNUSED_PAD src0_sel:WORD_1 src1_sel:DWORD
	v_ashrrev_i32_e32 v3, 31, v0
	v_add_co_u32_e32 v12, vcc, v1, v0
	v_addc_co_u32_e32 v13, vcc, v2, v3, vcc
	flat_load_dwordx4 v[0:3], v[12:13]
	s_waitcnt vmcnt(0)
	v_add_co_u32_e32 v8, vcc, v5, v4
	buffer_load_dword v26, off, s[0:3], 0 offset:212
	buffer_load_dword v27, off, s[0:3], 0 offset:192
	;; [unrolled: 1-line block ×6, first 2 shown]
	v_addc_co_u32_e32 v9, vcc, v6, v7, vcc
	v_lshlrev_b16_sdwa v121, v47, v86 dst_sel:DWORD dst_unused:UNUSED_PAD src0_sel:DWORD src1_sel:WORD_1
	v_and_b32_sdwa v122, v87, s41 dst_sel:DWORD dst_unused:UNUSED_PAD src0_sel:WORD_1 src1_sel:DWORD
	v_and_b32_e32 v123, 0xffffff00, v86
	v_and_b32_sdwa v124, v80, s41 dst_sel:DWORD dst_unused:UNUSED_PAD src0_sel:WORD_1 src1_sel:DWORD
	v_and_b32_sdwa v125, v94, s42 dst_sel:DWORD dst_unused:UNUSED_PAD src0_sel:WORD_1 src1_sel:DWORD
	v_lshlrev_b16_sdwa v126, v47, v94 dst_sel:DWORD dst_unused:UNUSED_PAD src0_sel:DWORD src1_sel:WORD_1
	v_and_b32_e32 v127, 0xffffff00, v94
	v_and_b32_sdwa v128, v81, s41 dst_sel:DWORD dst_unused:UNUSED_PAD src0_sel:WORD_1 src1_sel:DWORD
	v_and_b32_sdwa v129, v95, s42 dst_sel:DWORD dst_unused:UNUSED_PAD src0_sel:WORD_1 src1_sel:DWORD
	v_lshlrev_b16_sdwa v130, v47, v95 dst_sel:DWORD dst_unused:UNUSED_PAD src0_sel:DWORD src1_sel:WORD_1
	v_and_b32_e32 v131, 0xffffff00, v95
	v_and_b32_sdwa v132, v92, s42 dst_sel:DWORD dst_unused:UNUSED_PAD src0_sel:WORD_1 src1_sel:DWORD
	v_lshlrev_b16_sdwa v133, v47, v92 dst_sel:DWORD dst_unused:UNUSED_PAD src0_sel:DWORD src1_sel:WORD_1
	v_and_b32_sdwa v134, v82, s41 dst_sel:DWORD dst_unused:UNUSED_PAD src0_sel:WORD_1 src1_sel:DWORD
	v_and_b32_e32 v135, 0xffffff00, v92
	v_and_b32_sdwa v136, v93, s42 dst_sel:DWORD dst_unused:UNUSED_PAD src0_sel:WORD_1 src1_sel:DWORD
	v_lshlrev_b16_sdwa v137, v47, v93 dst_sel:DWORD dst_unused:UNUSED_PAD src0_sel:DWORD src1_sel:WORD_1
	v_and_b32_sdwa v138, v83, s41 dst_sel:DWORD dst_unused:UNUSED_PAD src0_sel:WORD_1 src1_sel:DWORD
	v_and_b32_e32 v139, 0xffffff00, v93
	v_or_b32_sdwa v111, v88, v111 dst_sel:DWORD dst_unused:UNUSED_PAD src0_sel:BYTE_1 src1_sel:DWORD
	v_or_b32_sdwa v113, v89, v113 dst_sel:WORD_1 dst_unused:UNUSED_PAD src0_sel:BYTE_3 src1_sel:DWORD
	v_or_b32_sdwa v112, v112, v114 dst_sel:WORD_1 dst_unused:UNUSED_PAD src0_sel:DWORD src1_sel:DWORD
	v_or_b32_sdwa v114, v89, v115 dst_sel:WORD_1 dst_unused:UNUSED_PAD src0_sel:BYTE_1 src1_sel:DWORD
	v_or_b32_sdwa v115, v85, v116 dst_sel:WORD_1 dst_unused:UNUSED_PAD src0_sel:BYTE_3 src1_sel:DWORD
	v_or_b32_sdwa v116, v118, v117 dst_sel:WORD_1 dst_unused:UNUSED_PAD src0_sel:DWORD src1_sel:DWORD
	v_or_b32_sdwa v117, v85, v119 dst_sel:WORD_1 dst_unused:UNUSED_PAD src0_sel:BYTE_1 src1_sel:DWORD
	v_or_b32_sdwa v118, v87, v120 dst_sel:DWORD dst_unused:UNUSED_PAD src0_sel:BYTE_3 src1_sel:DWORD
	v_or_b32_e32 v119, v122, v121
	v_or_b32_sdwa v120, v87, v123 dst_sel:DWORD dst_unused:UNUSED_PAD src0_sel:BYTE_1 src1_sel:DWORD
	v_or_b32_sdwa v121, v80, v125 dst_sel:DWORD dst_unused:UNUSED_PAD src0_sel:BYTE_3 src1_sel:DWORD
	v_or_b32_e32 v122, v124, v126
	v_or_b32_sdwa v123, v80, v127 dst_sel:DWORD dst_unused:UNUSED_PAD src0_sel:BYTE_1 src1_sel:DWORD
	v_or_b32_sdwa v124, v81, v129 dst_sel:WORD_1 dst_unused:UNUSED_PAD src0_sel:BYTE_3 src1_sel:DWORD
	v_or_b32_sdwa v125, v128, v130 dst_sel:WORD_1 dst_unused:UNUSED_PAD src0_sel:DWORD src1_sel:DWORD
	v_or_b32_sdwa v126, v81, v131 dst_sel:WORD_1 dst_unused:UNUSED_PAD src0_sel:BYTE_1 src1_sel:DWORD
	v_or_b32_sdwa v127, v82, v132 dst_sel:WORD_1 dst_unused:UNUSED_PAD src0_sel:BYTE_3 src1_sel:DWORD
	v_or_b32_sdwa v128, v134, v133 dst_sel:WORD_1 dst_unused:UNUSED_PAD src0_sel:DWORD src1_sel:DWORD
	v_or_b32_sdwa v129, v82, v135 dst_sel:WORD_1 dst_unused:UNUSED_PAD src0_sel:BYTE_1 src1_sel:DWORD
	v_or_b32_sdwa v130, v83, v136 dst_sel:DWORD dst_unused:UNUSED_PAD src0_sel:BYTE_3 src1_sel:DWORD
	v_or_b32_e32 v131, v138, v137
	v_or_b32_sdwa v132, v83, v139 dst_sel:DWORD dst_unused:UNUSED_PAD src0_sel:BYTE_1 src1_sel:DWORD
	s_waitcnt lgkmcnt(0)
	buffer_store_dword v0, off, s[0:3], 0
	buffer_store_dword v1, off, s[0:3], 0 offset:4
	buffer_store_dword v2, off, s[0:3], 0 offset:8
	;; [unrolled: 1-line block ×3, first 2 shown]
	flat_load_dwordx4 v[4:7], v[8:9]
	s_waitcnt vmcnt(0) lgkmcnt(0)
	buffer_store_dword v4, off, s[0:3], 0 offset:32
	buffer_store_dword v5, off, s[0:3], 0 offset:36
	;; [unrolled: 1-line block ×4, first 2 shown]
	flat_load_dwordx4 v[8:11], v[8:9] offset:256
	s_nop 0
	buffer_load_dword v32, off, s[0:3], 0 offset:176
	buffer_load_dword v33, off, s[0:3], 0 offset:208
	;; [unrolled: 1-line block ×16, first 2 shown]
	v_dot4c_i32_i8_e32 v19, v0, v4
	v_dot4c_i32_i8_e32 v16, v0, v5
	;; [unrolled: 1-line block ×8, first 2 shown]
	s_waitcnt vmcnt(0) lgkmcnt(0)
	buffer_store_dword v8, off, s[0:3], 0 offset:48
	buffer_store_dword v9, off, s[0:3], 0 offset:52
	;; [unrolled: 1-line block ×4, first 2 shown]
	flat_load_dwordx4 v[12:15], v[12:13] offset:256
	v_dot4c_i32_i8_e32 v32, v1, v4
	v_dot4c_i32_i8_e32 v33, v2, v4
	;; [unrolled: 1-line block ×24, first 2 shown]
	v_mov_b32_e32 v0, s25
	v_mov_b32_e32 v1, s7
	;; [unrolled: 1-line block ×12, first 2 shown]
	buffer_store_dword v19, off, s[0:3], 0 offset:144
	buffer_store_dword v16, off, s[0:3], 0 offset:148
	;; [unrolled: 1-line block ×32, first 2 shown]
	s_waitcnt vmcnt(0) lgkmcnt(0)
	buffer_store_dword v12, off, s[0:3], 0 offset:16
	buffer_store_dword v13, off, s[0:3], 0 offset:20
	;; [unrolled: 1-line block ×4, first 2 shown]
	s_swappc_b64 s[30:31], s[20:21]
	buffer_load_dword v0, off, s[0:3], 0 offset:32
	buffer_load_dword v1, off, s[0:3], 0 offset:36
	;; [unrolled: 1-line block ×46, first 2 shown]
	s_waitcnt vmcnt(39)
	v_dot4c_i32_i8_e32 v6, v4, v0
	s_waitcnt vmcnt(38)
	v_dot4c_i32_i8_e32 v7, v4, v1
	;; [unrolled: 2-line block ×14, first 2 shown]
	v_lshlrev_b16_e32 v0, 8, v90
	v_lshlrev_b16_e32 v1, 8, v91
	v_or_b32_sdwa v0, v88, v0 dst_sel:DWORD dst_unused:UNUSED_PAD src0_sel:BYTE_0 src1_sel:DWORD
	v_or_b32_sdwa v1, v89, v1 dst_sel:WORD_1 dst_unused:UNUSED_PAD src0_sel:BYTE_0 src1_sel:DWORD
	s_waitcnt vmcnt(23)
	v_dot4c_i32_i8_e32 v22, v19, v2
	s_waitcnt vmcnt(22)
	v_dot4c_i32_i8_e32 v23, v19, v3
	;; [unrolled: 2-line block ×18, first 2 shown]
	v_or_b32_sdwa v0, v0, v1 dst_sel:DWORD dst_unused:UNUSED_PAD src0_sel:WORD_0 src1_sel:DWORD
	s_waitcnt vmcnt(0)
	v_add_co_u32_e32 v4, vcc, v107, v34
	v_or_b32_sdwa v1, v111, v114 dst_sel:DWORD dst_unused:UNUSED_PAD src0_sel:WORD_0 src1_sel:DWORD
	v_or_b32_sdwa v2, v110, v112 dst_sel:DWORD dst_unused:UNUSED_PAD src0_sel:WORD_0 src1_sel:DWORD
	;; [unrolled: 1-line block ×3, first 2 shown]
	v_addc_co_u32_e32 v5, vcc, 0, v106, vcc
	buffer_store_dword v6, off, s[0:3], 0 offset:272
	buffer_store_dword v7, off, s[0:3], 0 offset:276
	;; [unrolled: 1-line block ×32, first 2 shown]
	flat_store_dwordx4 v[4:5], v[0:3]
	v_lshlrev_b16_e32 v8, 8, v93
	v_lshlrev_b16_e32 v0, 8, v86
	;; [unrolled: 1-line block ×3, first 2 shown]
	v_or_b32_sdwa v0, v87, v0 dst_sel:DWORD dst_unused:UNUSED_PAD src0_sel:BYTE_0 src1_sel:DWORD
	v_or_b32_sdwa v1, v85, v1 dst_sel:WORD_1 dst_unused:UNUSED_PAD src0_sel:BYTE_0 src1_sel:DWORD
	v_or_b32_sdwa v0, v0, v1 dst_sel:DWORD dst_unused:UNUSED_PAD src0_sel:WORD_0 src1_sel:DWORD
	v_or_b32_sdwa v1, v120, v117 dst_sel:DWORD dst_unused:UNUSED_PAD src0_sel:WORD_0 src1_sel:DWORD
	;; [unrolled: 1-line block ×4, first 2 shown]
	flat_store_dwordx4 v[4:5], v[0:3] offset:512
	buffer_load_dword v10, off, s[0:3], 0 offset:448
	buffer_load_dword v11, off, s[0:3], 0 offset:452
	v_lshlrev_b16_e32 v0, 8, v94
	v_lshlrev_b16_e32 v4, 8, v95
	v_lshlrev_b16_e32 v9, 8, v92
	v_or_b32_sdwa v0, v80, v0 dst_sel:DWORD dst_unused:UNUSED_PAD src0_sel:BYTE_0 src1_sel:DWORD
	v_or_b32_sdwa v4, v81, v4 dst_sel:WORD_1 dst_unused:UNUSED_PAD src0_sel:BYTE_0 src1_sel:DWORD
	v_or_b32_sdwa v8, v83, v8 dst_sel:DWORD dst_unused:UNUSED_PAD src0_sel:BYTE_0 src1_sel:DWORD
	v_or_b32_sdwa v9, v82, v9 dst_sel:WORD_1 dst_unused:UNUSED_PAD src0_sel:BYTE_0 src1_sel:DWORD
	v_or_b32_sdwa v0, v0, v4 dst_sel:DWORD dst_unused:UNUSED_PAD src0_sel:WORD_0 src1_sel:DWORD
	v_or_b32_sdwa v4, v8, v9 dst_sel:DWORD dst_unused:UNUSED_PAD src0_sel:WORD_0 src1_sel:DWORD
	;; [unrolled: 1-line block ×8, first 2 shown]
	v_add_u32_e32 v12, v37, v71
	v_add_u32_e32 v13, v37, v55
	;; [unrolled: 1-line block ×7, first 2 shown]
	s_waitcnt vmcnt(0)
	v_add_co_u32_e32 v8, vcc, v10, v34
	v_addc_co_u32_e32 v9, vcc, 0, v11, vcc
	flat_store_dwordx4 v[8:9], v[0:3]
	flat_store_dwordx4 v[8:9], v[4:7] offset:512
	v_add_u32_e32 v0, v37, v65
	v_add_u32_e32 v1, v37, v64
	buffer_load_dword v88, v12, s[16:19], 0 offen
	buffer_load_dword v90, v14, s[16:19], 0 offen
	;; [unrolled: 1-line block ×8, first 2 shown]
	v_add_u32_e32 v0, v37, v54
	v_add_u32_e32 v1, v37, v53
	v_add_u32_e32 v2, v37, v52
	v_add_u32_e32 v3, v37, v51
	v_add_u32_e32 v4, v37, v50
	v_add_u32_e32 v5, v37, v49
	v_add_u32_e32 v6, v37, v48
	buffer_load_dword v80, v13, s[8:11], 0 offen
	buffer_load_dword v94, v0, s[8:11], 0 offen
	buffer_load_dword v81, v1, s[8:11], 0 offen
	buffer_load_dword v95, v2, s[8:11], 0 offen
	buffer_load_dword v92, v3, s[8:11], 0 offen
	buffer_load_dword v84, v4, s[8:11], 0 offen
	buffer_load_dword v93, v5, s[8:11], 0 offen
	buffer_load_dword v85, v6, s[8:11], 0 offen
	s_waitcnt lgkmcnt(0)
	s_barrier
	buffer_load_dword v0, off, s[0:3], 0 offset:80
	s_nop 0
	buffer_store_dword v38, off, s[0:3], 0
	buffer_store_dword v38, off, s[0:3], 0 offset:4
	buffer_store_dword v38, off, s[0:3], 0 offset:8
	;; [unrolled: 1-line block ×15, first 2 shown]
	buffer_load_dword v4, off, s[0:3], 0 offset:112
	buffer_load_dword v16, off, s[0:3], 0 offset:160
	;; [unrolled: 1-line block ×5, first 2 shown]
	s_waitcnt vmcnt(0)
	v_and_b32_sdwa v14, v88, s41 dst_sel:DWORD dst_unused:UNUSED_PAD src0_sel:WORD_1 src1_sel:DWORD
	v_and_b32_sdwa v15, v90, s42 dst_sel:DWORD dst_unused:UNUSED_PAD src0_sel:WORD_1 src1_sel:DWORD
	v_lshlrev_b16_sdwa v110, v47, v90 dst_sel:DWORD dst_unused:UNUSED_PAD src0_sel:DWORD src1_sel:WORD_1
	v_or_b32_sdwa v140, v88, v15 dst_sel:DWORD dst_unused:UNUSED_PAD src0_sel:BYTE_3 src1_sel:DWORD
	v_or_b32_e32 v110, v14, v110
	v_and_b32_e32 v111, 0xffffff00, v90
	v_and_b32_sdwa v112, v89, s41 dst_sel:DWORD dst_unused:UNUSED_PAD src0_sel:WORD_1 src1_sel:DWORD
	v_and_b32_sdwa v113, v91, s42 dst_sel:DWORD dst_unused:UNUSED_PAD src0_sel:WORD_1 src1_sel:DWORD
	v_lshlrev_b16_sdwa v114, v47, v91 dst_sel:DWORD dst_unused:UNUSED_PAD src0_sel:DWORD src1_sel:WORD_1
	v_and_b32_e32 v115, 0xffffff00, v91
	v_and_b32_sdwa v116, v82, s42 dst_sel:DWORD dst_unused:UNUSED_PAD src0_sel:WORD_1 src1_sel:DWORD
	v_lshlrev_b16_sdwa v117, v47, v82 dst_sel:DWORD dst_unused:UNUSED_PAD src0_sel:DWORD src1_sel:WORD_1
	v_and_b32_sdwa v118, v83, s41 dst_sel:DWORD dst_unused:UNUSED_PAD src0_sel:WORD_1 src1_sel:DWORD
	v_and_b32_e32 v119, 0xffffff00, v82
	v_and_b32_sdwa v120, v86, s42 dst_sel:DWORD dst_unused:UNUSED_PAD src0_sel:WORD_1 src1_sel:DWORD
	v_lshlrev_b16_sdwa v121, v47, v86 dst_sel:DWORD dst_unused:UNUSED_PAD src0_sel:DWORD src1_sel:WORD_1
	v_ashrrev_i32_e32 v5, 31, v4
	v_and_b32_sdwa v122, v87, s41 dst_sel:DWORD dst_unused:UNUSED_PAD src0_sel:WORD_1 src1_sel:DWORD
	v_ashrrev_i32_e32 v1, 31, v0
	v_add_co_u32_e32 v12, vcc, v107, v0
	v_addc_co_u32_e32 v13, vcc, v106, v1, vcc
	flat_load_dwordx4 v[0:3], v[12:13]
	v_add_co_u32_e32 v8, vcc, v10, v4
	buffer_load_dword v20, off, s[0:3], 0 offset:192
	buffer_load_dword v21, off, s[0:3], 0 offset:196
	;; [unrolled: 1-line block ×3, first 2 shown]
	v_addc_co_u32_e32 v9, vcc, v11, v5, vcc
	v_and_b32_e32 v123, 0xffffff00, v86
	v_and_b32_sdwa v124, v80, s41 dst_sel:DWORD dst_unused:UNUSED_PAD src0_sel:WORD_1 src1_sel:DWORD
	v_and_b32_sdwa v125, v94, s42 dst_sel:DWORD dst_unused:UNUSED_PAD src0_sel:WORD_1 src1_sel:DWORD
	v_lshlrev_b16_sdwa v126, v47, v94 dst_sel:DWORD dst_unused:UNUSED_PAD src0_sel:DWORD src1_sel:WORD_1
	v_and_b32_e32 v127, 0xffffff00, v94
	v_and_b32_sdwa v128, v81, s41 dst_sel:DWORD dst_unused:UNUSED_PAD src0_sel:WORD_1 src1_sel:DWORD
	v_and_b32_sdwa v129, v95, s42 dst_sel:DWORD dst_unused:UNUSED_PAD src0_sel:WORD_1 src1_sel:DWORD
	v_lshlrev_b16_sdwa v130, v47, v95 dst_sel:DWORD dst_unused:UNUSED_PAD src0_sel:DWORD src1_sel:WORD_1
	v_and_b32_e32 v131, 0xffffff00, v95
	v_and_b32_sdwa v132, v92, s42 dst_sel:DWORD dst_unused:UNUSED_PAD src0_sel:WORD_1 src1_sel:DWORD
	v_lshlrev_b16_sdwa v133, v47, v92 dst_sel:DWORD dst_unused:UNUSED_PAD src0_sel:DWORD src1_sel:WORD_1
	v_and_b32_sdwa v134, v84, s41 dst_sel:DWORD dst_unused:UNUSED_PAD src0_sel:WORD_1 src1_sel:DWORD
	v_and_b32_e32 v135, 0xffffff00, v92
	v_and_b32_sdwa v136, v93, s42 dst_sel:DWORD dst_unused:UNUSED_PAD src0_sel:WORD_1 src1_sel:DWORD
	v_lshlrev_b16_sdwa v137, v47, v93 dst_sel:DWORD dst_unused:UNUSED_PAD src0_sel:DWORD src1_sel:WORD_1
	v_and_b32_sdwa v138, v85, s41 dst_sel:DWORD dst_unused:UNUSED_PAD src0_sel:WORD_1 src1_sel:DWORD
	v_and_b32_e32 v139, 0xffffff00, v93
	v_or_b32_sdwa v111, v88, v111 dst_sel:DWORD dst_unused:UNUSED_PAD src0_sel:BYTE_1 src1_sel:DWORD
	v_or_b32_sdwa v113, v89, v113 dst_sel:WORD_1 dst_unused:UNUSED_PAD src0_sel:BYTE_3 src1_sel:DWORD
	v_or_b32_sdwa v112, v112, v114 dst_sel:WORD_1 dst_unused:UNUSED_PAD src0_sel:DWORD src1_sel:DWORD
	v_or_b32_sdwa v114, v89, v115 dst_sel:WORD_1 dst_unused:UNUSED_PAD src0_sel:BYTE_1 src1_sel:DWORD
	v_or_b32_sdwa v115, v83, v116 dst_sel:WORD_1 dst_unused:UNUSED_PAD src0_sel:BYTE_3 src1_sel:DWORD
	v_or_b32_sdwa v116, v118, v117 dst_sel:WORD_1 dst_unused:UNUSED_PAD src0_sel:DWORD src1_sel:DWORD
	v_or_b32_sdwa v117, v83, v119 dst_sel:WORD_1 dst_unused:UNUSED_PAD src0_sel:BYTE_1 src1_sel:DWORD
	v_or_b32_sdwa v118, v87, v120 dst_sel:DWORD dst_unused:UNUSED_PAD src0_sel:BYTE_3 src1_sel:DWORD
	v_or_b32_e32 v119, v122, v121
	v_or_b32_sdwa v120, v87, v123 dst_sel:DWORD dst_unused:UNUSED_PAD src0_sel:BYTE_1 src1_sel:DWORD
	v_or_b32_sdwa v121, v80, v125 dst_sel:DWORD dst_unused:UNUSED_PAD src0_sel:BYTE_3 src1_sel:DWORD
	v_or_b32_e32 v122, v124, v126
	v_or_b32_sdwa v123, v80, v127 dst_sel:DWORD dst_unused:UNUSED_PAD src0_sel:BYTE_1 src1_sel:DWORD
	s_waitcnt vmcnt(0) lgkmcnt(0)
	buffer_store_dword v0, off, s[0:3], 0
	buffer_store_dword v1, off, s[0:3], 0 offset:4
	buffer_store_dword v2, off, s[0:3], 0 offset:8
	;; [unrolled: 1-line block ×3, first 2 shown]
	flat_load_dwordx4 v[4:7], v[8:9]
	v_or_b32_sdwa v124, v81, v129 dst_sel:WORD_1 dst_unused:UNUSED_PAD src0_sel:BYTE_3 src1_sel:DWORD
	v_or_b32_sdwa v125, v128, v130 dst_sel:WORD_1 dst_unused:UNUSED_PAD src0_sel:DWORD src1_sel:DWORD
	v_or_b32_sdwa v126, v81, v131 dst_sel:WORD_1 dst_unused:UNUSED_PAD src0_sel:BYTE_1 src1_sel:DWORD
	v_or_b32_sdwa v127, v84, v132 dst_sel:WORD_1 dst_unused:UNUSED_PAD src0_sel:BYTE_3 src1_sel:DWORD
	v_or_b32_sdwa v128, v134, v133 dst_sel:WORD_1 dst_unused:UNUSED_PAD src0_sel:DWORD src1_sel:DWORD
	v_or_b32_sdwa v129, v84, v135 dst_sel:WORD_1 dst_unused:UNUSED_PAD src0_sel:BYTE_1 src1_sel:DWORD
	v_or_b32_sdwa v130, v85, v136 dst_sel:DWORD dst_unused:UNUSED_PAD src0_sel:BYTE_3 src1_sel:DWORD
	v_or_b32_e32 v131, v138, v137
	v_or_b32_sdwa v132, v85, v139 dst_sel:DWORD dst_unused:UNUSED_PAD src0_sel:BYTE_1 src1_sel:DWORD
	s_waitcnt vmcnt(0) lgkmcnt(0)
	buffer_store_dword v4, off, s[0:3], 0 offset:32
	buffer_store_dword v5, off, s[0:3], 0 offset:36
	;; [unrolled: 1-line block ×4, first 2 shown]
	flat_load_dwordx4 v[8:11], v[8:9] offset:256
	s_nop 0
	buffer_load_dword v23, off, s[0:3], 0 offset:144
	buffer_load_dword v24, off, s[0:3], 0 offset:148
	;; [unrolled: 1-line block ×25, first 2 shown]
	v_dot4c_i32_i8_e32 v19, v0, v7
	v_dot4c_i32_i8_e32 v22, v1, v7
	s_waitcnt vmcnt(0) lgkmcnt(0)
	buffer_store_dword v8, off, s[0:3], 0 offset:48
	buffer_store_dword v9, off, s[0:3], 0 offset:52
	;; [unrolled: 1-line block ×4, first 2 shown]
	flat_load_dwordx4 v[12:15], v[12:13] offset:256
	v_dot4c_i32_i8_e32 v23, v0, v4
	v_dot4c_i32_i8_e32 v24, v0, v5
	;; [unrolled: 1-line block ×30, first 2 shown]
	v_mov_b32_e32 v0, s25
	v_mov_b32_e32 v1, s7
	;; [unrolled: 1-line block ×12, first 2 shown]
	buffer_store_dword v23, off, s[0:3], 0 offset:144
	buffer_store_dword v24, off, s[0:3], 0 offset:148
	;; [unrolled: 1-line block ×32, first 2 shown]
	s_waitcnt vmcnt(0) lgkmcnt(0)
	buffer_store_dword v12, off, s[0:3], 0 offset:16
	buffer_store_dword v13, off, s[0:3], 0 offset:20
	;; [unrolled: 1-line block ×4, first 2 shown]
	s_swappc_b64 s[30:31], s[20:21]
	buffer_load_dword v2, off, s[0:3], 0 offset:32
	buffer_load_dword v3, off, s[0:3], 0 offset:36
	;; [unrolled: 1-line block ×46, first 2 shown]
	s_add_i32 s40, s40, 32
	v_add_u32_e32 v39, s48, v39
	v_add_u32_e32 v40, s48, v40
	;; [unrolled: 1-line block ×39, first 2 shown]
	s_waitcnt vmcnt(39)
	v_dot4c_i32_i8_e32 v8, v6, v2
	s_waitcnt vmcnt(38)
	v_dot4c_i32_i8_e32 v9, v6, v3
	;; [unrolled: 2-line block ×8, first 2 shown]
	s_cmp_lt_i32 s40, s47
	s_waitcnt vmcnt(30)
	v_dot4c_i32_i8_e32 v17, v16, v2
	s_waitcnt vmcnt(29)
	v_dot4c_i32_i8_e32 v18, v16, v3
	;; [unrolled: 2-line block ×4, first 2 shown]
	v_add_u32_e32 v79, s49, v79
	s_waitcnt vmcnt(25)
	v_dot4c_i32_i8_e32 v22, v21, v2
	s_waitcnt vmcnt(24)
	v_dot4c_i32_i8_e32 v23, v21, v3
	v_lshlrev_b16_e32 v2, 8, v90
	v_lshlrev_b16_e32 v3, 8, v91
	v_or_b32_sdwa v2, v88, v2 dst_sel:DWORD dst_unused:UNUSED_PAD src0_sel:BYTE_0 src1_sel:DWORD
	v_or_b32_sdwa v3, v89, v3 dst_sel:WORD_1 dst_unused:UNUSED_PAD src0_sel:BYTE_0 src1_sel:DWORD
	s_waitcnt vmcnt(23)
	v_dot4c_i32_i8_e32 v24, v21, v4
	s_waitcnt vmcnt(22)
	v_dot4c_i32_i8_e32 v25, v21, v5
	;; [unrolled: 2-line block ×18, first 2 shown]
	v_or_b32_sdwa v2, v2, v3 dst_sel:DWORD dst_unused:UNUSED_PAD src0_sel:WORD_0 src1_sel:DWORD
	s_waitcnt vmcnt(0)
	v_add_co_u32_e32 v6, vcc, v1, v34
	v_or_b32_sdwa v3, v111, v114 dst_sel:DWORD dst_unused:UNUSED_PAD src0_sel:WORD_0 src1_sel:DWORD
	v_or_b32_sdwa v4, v110, v112 dst_sel:DWORD dst_unused:UNUSED_PAD src0_sel:WORD_0 src1_sel:DWORD
	;; [unrolled: 1-line block ×3, first 2 shown]
	v_addc_co_u32_e32 v7, vcc, 0, v0, vcc
	buffer_store_dword v8, off, s[0:3], 0 offset:272
	buffer_store_dword v9, off, s[0:3], 0 offset:276
	;; [unrolled: 1-line block ×32, first 2 shown]
	flat_store_dwordx4 v[6:7], v[2:5]
	v_lshlrev_b16_e32 v8, 8, v95
	v_lshlrev_b16_e32 v2, 8, v86
	;; [unrolled: 1-line block ×3, first 2 shown]
	v_or_b32_sdwa v2, v87, v2 dst_sel:DWORD dst_unused:UNUSED_PAD src0_sel:BYTE_0 src1_sel:DWORD
	v_or_b32_sdwa v3, v83, v3 dst_sel:WORD_1 dst_unused:UNUSED_PAD src0_sel:BYTE_0 src1_sel:DWORD
	v_or_b32_sdwa v2, v2, v3 dst_sel:DWORD dst_unused:UNUSED_PAD src0_sel:WORD_0 src1_sel:DWORD
	v_or_b32_sdwa v3, v120, v117 dst_sel:DWORD dst_unused:UNUSED_PAD src0_sel:WORD_0 src1_sel:DWORD
	;; [unrolled: 1-line block ×4, first 2 shown]
	flat_store_dwordx4 v[6:7], v[2:5] offset:512
	buffer_load_dword v2, off, s[0:3], 0 offset:416
	s_nop 0
	buffer_load_dword v3, off, s[0:3], 0 offset:420
	v_lshlrev_b16_e32 v4, 8, v94
	v_lshlrev_b16_e32 v12, 8, v93
	;; [unrolled: 1-line block ×3, first 2 shown]
	v_or_b32_sdwa v4, v80, v4 dst_sel:DWORD dst_unused:UNUSED_PAD src0_sel:BYTE_0 src1_sel:DWORD
	v_or_b32_sdwa v8, v81, v8 dst_sel:WORD_1 dst_unused:UNUSED_PAD src0_sel:BYTE_0 src1_sel:DWORD
	v_or_b32_sdwa v12, v85, v12 dst_sel:DWORD dst_unused:UNUSED_PAD src0_sel:BYTE_0 src1_sel:DWORD
	v_or_b32_sdwa v13, v84, v13 dst_sel:WORD_1 dst_unused:UNUSED_PAD src0_sel:BYTE_0 src1_sel:DWORD
	v_or_b32_sdwa v4, v4, v8 dst_sel:DWORD dst_unused:UNUSED_PAD src0_sel:WORD_0 src1_sel:DWORD
	v_or_b32_sdwa v8, v12, v13 dst_sel:DWORD dst_unused:UNUSED_PAD src0_sel:WORD_0 src1_sel:DWORD
	;; [unrolled: 1-line block ×8, first 2 shown]
	s_waitcnt vmcnt(0)
	v_add_co_u32_e32 v12, vcc, v2, v34
	v_addc_co_u32_e32 v13, vcc, 0, v3, vcc
	flat_store_dwordx4 v[12:13], v[4:7]
	flat_store_dwordx4 v[12:13], v[8:11] offset:512
	s_cbranch_scc1 .LBB2_1
; %bb.2:
	s_waitcnt lgkmcnt(0)
	s_barrier
	buffer_load_dword v4, off, s[0:3], 0 offset:80
	s_mul_i32 s4, s34, 60
	s_mul_i32 s30, s35, 60
	v_add3_u32 v10, v37, v43, s4
	v_add3_u32 v13, v37, v39, s30
	v_add_u32_e32 v14, s38, v10
	v_add_u32_e32 v15, s39, v13
	v_subrev_u32_e32 v20, s34, v14
	v_subrev_u32_e32 v21, s35, v15
	v_add3_u32 v5, v37, v46, s4
	v_add3_u32 v12, v37, v40, s30
	v_subrev_u32_e32 v22, s34, v20
	v_subrev_u32_e32 v23, s35, v21
	v_mov_b32_e32 v38, 0
	buffer_load_dword v8, off, s[0:3], 0 offset:112
	buffer_load_dword v16, off, s[0:3], 0 offset:160
	;; [unrolled: 1-line block ×5, first 2 shown]
	v_add3_u32 v6, v37, v42, s30
	v_add3_u32 v7, v37, v45, s4
	;; [unrolled: 1-line block ×4, first 2 shown]
	v_subrev_u32_e32 v24, s34, v22
	v_subrev_u32_e32 v25, s35, v23
	buffer_load_dword v50, v5, s[16:19], 0 offen
	buffer_load_dword v52, v7, s[16:19], 0 offen
	;; [unrolled: 1-line block ×15, first 2 shown]
                                        ; kill: killed $vgpr15
                                        ; kill: killed $vgpr10
                                        ; kill: killed $vgpr21
                                        ; kill: killed $vgpr22
                                        ; kill: killed $sgpr16_sgpr17_sgpr18 killed $sgpr19
                                        ; kill: killed $vgpr7
                                        ; kill: killed $vgpr24
                                        ; kill: killed $vgpr9
                                        ; kill: killed $vgpr6
                                        ; kill: killed $vgpr13
                                        ; kill: killed $vgpr23
                                        ; kill: killed $vgpr12
                                        ; kill: killed $vgpr14
                                        ; kill: killed $vgpr20
                                        ; kill: killed $vgpr5
                                        ; kill: killed $vgpr11
	buffer_load_dword v43, v25, s[8:11], 0 offen
	s_nop 0
	buffer_store_dword v38, off, s[0:3], 0
	buffer_store_dword v38, off, s[0:3], 0 offset:4
	buffer_store_dword v38, off, s[0:3], 0 offset:8
	buffer_store_dword v38, off, s[0:3], 0 offset:12
	buffer_store_dword v38, off, s[0:3], 0 offset:16
	buffer_store_dword v38, off, s[0:3], 0 offset:20
	buffer_store_dword v38, off, s[0:3], 0 offset:24
	buffer_store_dword v38, off, s[0:3], 0 offset:28
	buffer_store_dword v38, off, s[0:3], 0 offset:32
	buffer_store_dword v38, off, s[0:3], 0 offset:36
	buffer_store_dword v38, off, s[0:3], 0 offset:40
	buffer_store_dword v38, off, s[0:3], 0 offset:44
	buffer_store_dword v38, off, s[0:3], 0 offset:48
	buffer_store_dword v38, off, s[0:3], 0 offset:52
	buffer_store_dword v38, off, s[0:3], 0 offset:56
	buffer_store_dword v38, off, s[0:3], 0 offset:60
	s_movk_i32 s4, 0xff
	v_mov_b32_e32 v28, 8
	s_movk_i32 s10, 0xff00
	s_mov_b64 s[8:9], src_private_base
	s_waitcnt vmcnt(0)
	v_and_b32_sdwa v14, v50, s4 dst_sel:DWORD dst_unused:UNUSED_PAD src0_sel:WORD_1 src1_sel:DWORD
	v_lshlrev_b16_sdwa v69, v28, v52 dst_sel:DWORD dst_unused:UNUSED_PAD src0_sel:DWORD src1_sel:WORD_1
	v_and_b32_sdwa v15, v52, s10 dst_sel:DWORD dst_unused:UNUSED_PAD src0_sel:WORD_1 src1_sel:DWORD
	v_or_b32_e32 v69, v14, v69
	v_and_b32_sdwa v14, v46, s10 dst_sel:DWORD dst_unused:UNUSED_PAD src0_sel:WORD_1 src1_sel:DWORD
	v_or_b32_sdwa v83, v50, v15 dst_sel:DWORD dst_unused:UNUSED_PAD src0_sel:BYTE_3 src1_sel:DWORD
	v_lshlrev_b16_sdwa v15, v28, v46 dst_sel:DWORD dst_unused:UNUSED_PAD src0_sel:DWORD src1_sel:WORD_1
	v_or_b32_sdwa v85, v47, v14 dst_sel:WORD_1 dst_unused:UNUSED_PAD src0_sel:BYTE_3 src1_sel:DWORD
	v_and_b32_sdwa v14, v47, s4 dst_sel:DWORD dst_unused:UNUSED_PAD src0_sel:WORD_1 src1_sel:DWORD
	v_or_b32_sdwa v87, v14, v15 dst_sel:WORD_1 dst_unused:UNUSED_PAD src0_sel:DWORD src1_sel:DWORD
	v_ashrrev_i32_e32 v5, 31, v4
	v_add_co_u32_e32 v12, vcc, v1, v4
	v_addc_co_u32_e32 v13, vcc, v0, v5, vcc
	flat_load_dwordx4 v[4:7], v[12:13]
	buffer_load_dword v20, off, s[0:3], 0 offset:192
	buffer_load_dword v21, off, s[0:3], 0 offset:196
	;; [unrolled: 1-line block ×3, first 2 shown]
	v_and_b32_sdwa v75, v37, s4 dst_sel:DWORD dst_unused:UNUSED_PAD src0_sel:WORD_1 src1_sel:DWORD
	v_lshlrev_b16_sdwa v77, v28, v44 dst_sel:DWORD dst_unused:UNUSED_PAD src0_sel:DWORD src1_sel:WORD_1
	v_and_b32_e32 v78, 0xffffff00, v44
	v_ashrrev_i32_e32 v0, 31, v8
	v_add_co_u32_e32 v8, vcc, v2, v8
	v_addc_co_u32_e32 v9, vcc, v3, v0, vcc
	v_and_b32_sdwa v80, v45, s10 dst_sel:DWORD dst_unused:UNUSED_PAD src0_sel:WORD_1 src1_sel:DWORD
	v_and_b32_e32 v82, 0xffffff00, v45
	v_and_b32_sdwa v71, v51, s4 dst_sel:DWORD dst_unused:UNUSED_PAD src0_sel:WORD_1 src1_sel:DWORD
	v_lshlrev_b16_sdwa v73, v28, v53 dst_sel:DWORD dst_unused:UNUSED_PAD src0_sel:DWORD src1_sel:WORD_1
	v_and_b32_e32 v74, 0xffffff00, v53
	v_and_b32_sdwa v79, v39, s4 dst_sel:DWORD dst_unused:UNUSED_PAD src0_sel:WORD_1 src1_sel:DWORD
	v_lshlrev_b16_sdwa v81, v28, v45 dst_sel:DWORD dst_unused:UNUSED_PAD src0_sel:DWORD src1_sel:WORD_1
	v_or_b32_e32 v75, v75, v77
	v_or_b32_sdwa v77, v37, v78 dst_sel:DWORD dst_unused:UNUSED_PAD src0_sel:BYTE_1 src1_sel:DWORD
	v_or_b32_sdwa v78, v39, v80 dst_sel:WORD_1 dst_unused:UNUSED_PAD src0_sel:BYTE_3 src1_sel:DWORD
	v_or_b32_sdwa v80, v39, v82 dst_sel:WORD_1 dst_unused:UNUSED_PAD src0_sel:BYTE_1 src1_sel:DWORD
	v_lshlrev_b16_sdwa v82, v28, v41 dst_sel:DWORD dst_unused:UNUSED_PAD src0_sel:DWORD src1_sel:WORD_1
	v_and_b32_sdwa v86, v40, s4 dst_sel:DWORD dst_unused:UNUSED_PAD src0_sel:WORD_1 src1_sel:DWORD
	v_and_b32_e32 v70, 0xffffff00, v52
	v_and_b32_sdwa v72, v53, s10 dst_sel:DWORD dst_unused:UNUSED_PAD src0_sel:WORD_1 src1_sel:DWORD
	v_and_b32_sdwa v76, v44, s10 dst_sel:DWORD dst_unused:UNUSED_PAD src0_sel:WORD_1 src1_sel:DWORD
	v_or_b32_sdwa v71, v71, v73 dst_sel:WORD_1 dst_unused:UNUSED_PAD src0_sel:DWORD src1_sel:DWORD
	v_or_b32_sdwa v73, v51, v74 dst_sel:WORD_1 dst_unused:UNUSED_PAD src0_sel:BYTE_1 src1_sel:DWORD
	v_and_b32_e32 v74, 0xffffff00, v46
	v_or_b32_sdwa v79, v79, v81 dst_sel:WORD_1 dst_unused:UNUSED_PAD src0_sel:DWORD src1_sel:DWORD
	v_and_b32_sdwa v81, v41, s10 dst_sel:DWORD dst_unused:UNUSED_PAD src0_sel:WORD_1 src1_sel:DWORD
	v_and_b32_e32 v84, 0xffffff00, v41
	v_and_b32_sdwa v88, v48, s10 dst_sel:DWORD dst_unused:UNUSED_PAD src0_sel:WORD_1 src1_sel:DWORD
	v_lshlrev_b16_sdwa v89, v28, v48 dst_sel:DWORD dst_unused:UNUSED_PAD src0_sel:DWORD src1_sel:WORD_1
	v_and_b32_e32 v90, 0xffffff00, v48
	v_or_b32_sdwa v82, v86, v82 dst_sel:WORD_1 dst_unused:UNUSED_PAD src0_sel:DWORD src1_sel:DWORD
	v_and_b32_sdwa v86, v42, s10 dst_sel:DWORD dst_unused:UNUSED_PAD src0_sel:WORD_1 src1_sel:DWORD
	v_lshlrev_b16_sdwa v28, v28, v42 dst_sel:DWORD dst_unused:UNUSED_PAD src0_sel:DWORD src1_sel:WORD_1
	v_and_b32_e32 v91, 0xffffff00, v42
	v_and_b32_sdwa v92, v49, s4 dst_sel:DWORD dst_unused:UNUSED_PAD src0_sel:WORD_1 src1_sel:DWORD
	v_and_b32_sdwa v93, v43, s4 dst_sel:DWORD dst_unused:UNUSED_PAD src0_sel:WORD_1 src1_sel:DWORD
	v_or_b32_sdwa v70, v50, v70 dst_sel:DWORD dst_unused:UNUSED_PAD src0_sel:BYTE_1 src1_sel:DWORD
	v_or_b32_sdwa v72, v51, v72 dst_sel:WORD_1 dst_unused:UNUSED_PAD src0_sel:BYTE_3 src1_sel:DWORD
	v_or_b32_sdwa v76, v37, v76 dst_sel:DWORD dst_unused:UNUSED_PAD src0_sel:BYTE_3 src1_sel:DWORD
	v_or_b32_sdwa v74, v47, v74 dst_sel:WORD_1 dst_unused:UNUSED_PAD src0_sel:BYTE_1 src1_sel:DWORD
	v_or_b32_sdwa v81, v40, v81 dst_sel:WORD_1 dst_unused:UNUSED_PAD src0_sel:BYTE_3 src1_sel:DWORD
	v_or_b32_sdwa v84, v40, v84 dst_sel:WORD_1 dst_unused:UNUSED_PAD src0_sel:BYTE_1 src1_sel:DWORD
	v_or_b32_sdwa v88, v49, v88 dst_sel:DWORD dst_unused:UNUSED_PAD src0_sel:BYTE_3 src1_sel:DWORD
	v_or_b32_sdwa v90, v49, v90 dst_sel:DWORD dst_unused:UNUSED_PAD src0_sel:BYTE_1 src1_sel:DWORD
	v_or_b32_sdwa v86, v43, v86 dst_sel:DWORD dst_unused:UNUSED_PAD src0_sel:BYTE_3 src1_sel:DWORD
	v_or_b32_sdwa v91, v43, v91 dst_sel:DWORD dst_unused:UNUSED_PAD src0_sel:BYTE_1 src1_sel:DWORD
	v_or_b32_e32 v89, v92, v89
	v_or_b32_e32 v92, v93, v28
	s_waitcnt vmcnt(0) lgkmcnt(0)
	buffer_store_dword v4, off, s[0:3], 0
	buffer_store_dword v5, off, s[0:3], 0 offset:4
	buffer_store_dword v6, off, s[0:3], 0 offset:8
	buffer_store_dword v7, off, s[0:3], 0 offset:12
	flat_load_dwordx4 v[0:3], v[8:9]
	s_waitcnt vmcnt(0) lgkmcnt(0)
	buffer_store_dword v0, off, s[0:3], 0 offset:32
	buffer_store_dword v1, off, s[0:3], 0 offset:36
	;; [unrolled: 1-line block ×4, first 2 shown]
	flat_load_dwordx4 v[8:11], v[8:9] offset:256
	s_nop 0
	buffer_load_dword v23, off, s[0:3], 0 offset:144
	buffer_load_dword v24, off, s[0:3], 0 offset:148
	;; [unrolled: 1-line block ×25, first 2 shown]
	v_dot4c_i32_i8_e32 v19, v4, v3
	v_dot4c_i32_i8_e32 v22, v5, v3
	s_waitcnt vmcnt(0) lgkmcnt(0)
	buffer_store_dword v8, off, s[0:3], 0 offset:48
	buffer_store_dword v9, off, s[0:3], 0 offset:52
	;; [unrolled: 1-line block ×4, first 2 shown]
	flat_load_dwordx4 v[12:15], v[12:13] offset:256
	v_dot4c_i32_i8_e32 v23, v4, v0
	v_dot4c_i32_i8_e32 v24, v4, v1
	;; [unrolled: 1-line block ×30, first 2 shown]
	v_mov_b32_e32 v0, s25
	v_mov_b32_e32 v1, s7
	v_mov_b32_e32 v2, s36
	v_mov_b32_e32 v3, s37
	v_mov_b32_e32 v4, 0
	v_mov_b32_e32 v6, 32
	v_mov_b32_e32 v8, s6
	v_mov_b32_e32 v9, s22
	v_mov_b32_e32 v10, s29
	v_mov_b32_e32 v5, s9
	v_mov_b32_e32 v7, s9
	v_mov_b32_e32 v11, s28
	buffer_store_dword v23, off, s[0:3], 0 offset:144
	buffer_store_dword v24, off, s[0:3], 0 offset:148
	;; [unrolled: 1-line block ×32, first 2 shown]
	s_waitcnt vmcnt(0) lgkmcnt(0)
	buffer_store_dword v12, off, s[0:3], 0 offset:16
	buffer_store_dword v13, off, s[0:3], 0 offset:20
	;; [unrolled: 1-line block ×4, first 2 shown]
	s_swappc_b64 s[30:31], s[20:21]
	buffer_load_dword v0, off, s[0:3], 0 offset:32
	buffer_load_dword v1, off, s[0:3], 0 offset:36
	;; [unrolled: 1-line block ×46, first 2 shown]
	s_waitcnt vmcnt(39)
	v_dot4c_i32_i8_e32 v6, v4, v0
	s_waitcnt vmcnt(38)
	v_dot4c_i32_i8_e32 v7, v4, v1
	;; [unrolled: 2-line block ×14, first 2 shown]
	v_lshlrev_b16_e32 v0, 8, v52
	v_lshlrev_b16_e32 v1, 8, v53
	v_or_b32_sdwa v0, v50, v0 dst_sel:DWORD dst_unused:UNUSED_PAD src0_sel:BYTE_0 src1_sel:DWORD
	v_or_b32_sdwa v1, v51, v1 dst_sel:WORD_1 dst_unused:UNUSED_PAD src0_sel:BYTE_0 src1_sel:DWORD
	s_waitcnt vmcnt(23)
	v_dot4c_i32_i8_e32 v22, v19, v2
	s_waitcnt vmcnt(22)
	v_dot4c_i32_i8_e32 v23, v19, v3
	s_waitcnt vmcnt(17)
	v_dot4c_i32_i8_e32 v28, v4, v24
	s_waitcnt vmcnt(16)
	v_dot4c_i32_i8_e32 v29, v4, v27
	s_waitcnt vmcnt(15)
	v_dot4c_i32_i8_e32 v30, v4, v26
	s_waitcnt vmcnt(14)
	v_dot4c_i32_i8_e32 v31, v4, v25
	s_waitcnt vmcnt(13)
	v_dot4c_i32_i8_e32 v32, v5, v24
	s_waitcnt vmcnt(12)
	v_dot4c_i32_i8_e32 v33, v5, v27
	s_waitcnt vmcnt(11)
	v_dot4c_i32_i8_e32 v54, v5, v26
	s_waitcnt vmcnt(10)
	v_dot4c_i32_i8_e32 v55, v5, v25
	s_waitcnt vmcnt(9)
	v_dot4c_i32_i8_e32 v56, v14, v24
	s_waitcnt vmcnt(8)
	v_dot4c_i32_i8_e32 v57, v14, v27
	s_waitcnt vmcnt(7)
	v_dot4c_i32_i8_e32 v58, v14, v26
	s_waitcnt vmcnt(6)
	v_dot4c_i32_i8_e32 v59, v14, v25
	s_waitcnt vmcnt(5)
	v_dot4c_i32_i8_e32 v60, v19, v24
	s_waitcnt vmcnt(4)
	v_dot4c_i32_i8_e32 v61, v19, v27
	s_waitcnt vmcnt(3)
	v_dot4c_i32_i8_e32 v62, v19, v26
	s_waitcnt vmcnt(2)
	v_dot4c_i32_i8_e32 v63, v19, v25
	v_or_b32_sdwa v0, v0, v1 dst_sel:DWORD dst_unused:UNUSED_PAD src0_sel:WORD_0 src1_sel:DWORD
	s_waitcnt vmcnt(0)
	v_add_co_u32_e32 v4, vcc, v65, v34
	v_or_b32_sdwa v1, v70, v73 dst_sel:DWORD dst_unused:UNUSED_PAD src0_sel:WORD_0 src1_sel:DWORD
	v_or_b32_sdwa v2, v69, v71 dst_sel:DWORD dst_unused:UNUSED_PAD src0_sel:WORD_0 src1_sel:DWORD
	;; [unrolled: 1-line block ×3, first 2 shown]
	v_addc_co_u32_e32 v5, vcc, 0, v64, vcc
	buffer_store_dword v6, off, s[0:3], 0 offset:272
	buffer_store_dword v7, off, s[0:3], 0 offset:276
	;; [unrolled: 1-line block ×32, first 2 shown]
	flat_store_dwordx4 v[4:5], v[0:3]
	v_lshlrev_b16_e32 v8, 8, v42
	v_lshlrev_b16_e32 v0, 8, v48
	;; [unrolled: 1-line block ×3, first 2 shown]
	v_or_b32_sdwa v0, v49, v0 dst_sel:DWORD dst_unused:UNUSED_PAD src0_sel:BYTE_0 src1_sel:DWORD
	v_or_b32_sdwa v1, v47, v1 dst_sel:WORD_1 dst_unused:UNUSED_PAD src0_sel:BYTE_0 src1_sel:DWORD
	v_or_b32_sdwa v0, v0, v1 dst_sel:DWORD dst_unused:UNUSED_PAD src0_sel:WORD_0 src1_sel:DWORD
	v_or_b32_sdwa v1, v90, v74 dst_sel:DWORD dst_unused:UNUSED_PAD src0_sel:WORD_0 src1_sel:DWORD
	;; [unrolled: 1-line block ×4, first 2 shown]
	flat_store_dwordx4 v[4:5], v[0:3] offset:512
	buffer_load_dword v10, off, s[0:3], 0 offset:448
	buffer_load_dword v11, off, s[0:3], 0 offset:452
	v_lshlrev_b16_e32 v0, 8, v44
	v_lshlrev_b16_e32 v4, 8, v45
	;; [unrolled: 1-line block ×3, first 2 shown]
	v_or_b32_sdwa v0, v37, v0 dst_sel:DWORD dst_unused:UNUSED_PAD src0_sel:BYTE_0 src1_sel:DWORD
	v_or_b32_sdwa v4, v39, v4 dst_sel:WORD_1 dst_unused:UNUSED_PAD src0_sel:BYTE_0 src1_sel:DWORD
	v_or_b32_sdwa v8, v43, v8 dst_sel:DWORD dst_unused:UNUSED_PAD src0_sel:BYTE_0 src1_sel:DWORD
	v_or_b32_sdwa v9, v40, v9 dst_sel:WORD_1 dst_unused:UNUSED_PAD src0_sel:BYTE_0 src1_sel:DWORD
	v_or_b32_sdwa v0, v0, v4 dst_sel:DWORD dst_unused:UNUSED_PAD src0_sel:WORD_0 src1_sel:DWORD
	v_or_b32_sdwa v4, v8, v9 dst_sel:DWORD dst_unused:UNUSED_PAD src0_sel:WORD_0 src1_sel:DWORD
	;; [unrolled: 1-line block ×8, first 2 shown]
	s_waitcnt vmcnt(0)
	v_add_co_u32_e32 v8, vcc, v10, v34
	v_addc_co_u32_e32 v9, vcc, 0, v11, vcc
	flat_store_dwordx4 v[8:9], v[0:3]
	flat_store_dwordx4 v[8:9], v[4:7] offset:512
	s_waitcnt lgkmcnt(0)
	s_barrier
	buffer_load_dword v0, off, s[0:3], 0 offset:80
	s_nop 0
	buffer_store_dword v38, off, s[0:3], 0
	buffer_store_dword v38, off, s[0:3], 0 offset:4
	buffer_store_dword v38, off, s[0:3], 0 offset:8
	;; [unrolled: 1-line block ×15, first 2 shown]
	buffer_load_dword v4, off, s[0:3], 0 offset:112
	buffer_load_dword v16, off, s[0:3], 0 offset:160
	;; [unrolled: 1-line block ×5, first 2 shown]
	s_waitcnt vmcnt(0)
	v_ashrrev_i32_e32 v5, 31, v4
	v_ashrrev_i32_e32 v1, 31, v0
	v_add_co_u32_e32 v12, vcc, v65, v0
	v_addc_co_u32_e32 v13, vcc, v64, v1, vcc
	flat_load_dwordx4 v[0:3], v[12:13]
	v_add_co_u32_e32 v8, vcc, v10, v4
	buffer_load_dword v20, off, s[0:3], 0 offset:192
	buffer_load_dword v21, off, s[0:3], 0 offset:196
	;; [unrolled: 1-line block ×3, first 2 shown]
	v_addc_co_u32_e32 v9, vcc, v11, v5, vcc
	s_waitcnt vmcnt(0) lgkmcnt(0)
	buffer_store_dword v0, off, s[0:3], 0
	buffer_store_dword v1, off, s[0:3], 0 offset:4
	buffer_store_dword v2, off, s[0:3], 0 offset:8
	;; [unrolled: 1-line block ×3, first 2 shown]
	flat_load_dwordx4 v[4:7], v[8:9]
	s_waitcnt vmcnt(0) lgkmcnt(0)
	buffer_store_dword v4, off, s[0:3], 0 offset:32
	buffer_store_dword v5, off, s[0:3], 0 offset:36
	;; [unrolled: 1-line block ×4, first 2 shown]
	flat_load_dwordx4 v[8:11], v[8:9] offset:256
	s_nop 0
	buffer_load_dword v23, off, s[0:3], 0 offset:144
	buffer_load_dword v24, off, s[0:3], 0 offset:148
	;; [unrolled: 1-line block ×25, first 2 shown]
	v_dot4c_i32_i8_e32 v19, v0, v7
	v_dot4c_i32_i8_e32 v22, v1, v7
	s_waitcnt vmcnt(0) lgkmcnt(0)
	buffer_store_dword v8, off, s[0:3], 0 offset:48
	buffer_store_dword v9, off, s[0:3], 0 offset:52
	;; [unrolled: 1-line block ×4, first 2 shown]
	flat_load_dwordx4 v[12:15], v[12:13] offset:256
	v_dot4c_i32_i8_e32 v23, v0, v4
	v_dot4c_i32_i8_e32 v24, v0, v5
	;; [unrolled: 1-line block ×30, first 2 shown]
	v_mov_b32_e32 v0, s25
	v_mov_b32_e32 v1, s7
	;; [unrolled: 1-line block ×12, first 2 shown]
	buffer_store_dword v23, off, s[0:3], 0 offset:144
	buffer_store_dword v24, off, s[0:3], 0 offset:148
	;; [unrolled: 1-line block ×32, first 2 shown]
	s_waitcnt vmcnt(0) lgkmcnt(0)
	buffer_store_dword v12, off, s[0:3], 0 offset:16
	buffer_store_dword v13, off, s[0:3], 0 offset:20
	;; [unrolled: 1-line block ×4, first 2 shown]
	s_swappc_b64 s[30:31], s[20:21]
	buffer_load_dword v0, off, s[0:3], 0 offset:32
	buffer_load_dword v1, off, s[0:3], 0 offset:36
	;; [unrolled: 1-line block ×48, first 2 shown]
	s_mov_b32 s4, 0xc0c0500
	s_waitcnt vmcnt(41)
	v_dot4c_i32_i8_e32 v6, v4, v0
	s_waitcnt vmcnt(40)
	v_dot4c_i32_i8_e32 v7, v4, v1
	;; [unrolled: 2-line block ×13, first 2 shown]
	v_dot4c_i32_i8_e32 v20, v24, v1
	v_dot4c_i32_i8_e32 v21, v24, v2
	v_add_u32_e32 v0, s5, v36
	v_dot4c_i32_i8_e32 v22, v24, v3
	v_mul_lo_u32 v0, v0, s33
	s_waitcnt vmcnt(18)
	v_dot4c_i32_i8_e32 v29, v4, v26
	s_waitcnt vmcnt(17)
	v_dot4c_i32_i8_e32 v30, v4, v25
	;; [unrolled: 2-line block ×14, first 2 shown]
	s_waitcnt vmcnt(3)
	v_lshlrev_b32_e32 v3, 24, v46
	s_waitcnt vmcnt(2)
	v_lshlrev_b32_e32 v2, 16, v47
	;; [unrolled: 2-line block ×3, first 2 shown]
	v_and_b32_e32 v2, 0xff0000, v2
	s_waitcnt vmcnt(0)
	v_perm_b32 v1, v1, v49, s4
	v_dot4c_i32_i8_e32 v45, v24, v23
	v_add3_u32 v0, s15, v35, v0
	v_or3_b32 v1, v1, v2, v3
	s_mov_b32 s15, 0x20000
	v_dot4c_i32_i8_e32 v28, v4, v27
	buffer_store_dword v6, off, s[0:3], 0 offset:272
	buffer_store_dword v7, off, s[0:3], 0 offset:276
	;; [unrolled: 1-line block ×32, first 2 shown]
	buffer_store_dword v1, v0, s[12:15], 0 offen
	buffer_load_dword v1, off, s[0:3], 0 offset:164
	s_nop 0
	buffer_load_dword v2, off, s[0:3], 0 offset:168
	buffer_load_dword v3, off, s[0:3], 0 offset:172
	;; [unrolled: 1-line block ×3, first 2 shown]
	s_lshl_b32 s5, s33, 6
	s_waitcnt vmcnt(3)
	v_lshlrev_b32_e32 v1, 8, v1
	s_waitcnt vmcnt(2)
	v_lshlrev_b32_e32 v2, 16, v2
	;; [unrolled: 2-line block ×3, first 2 shown]
	v_and_b32_e32 v2, 0xff0000, v2
	s_waitcnt vmcnt(0)
	v_perm_b32 v1, v1, v4, s4
	v_or3_b32 v1, v1, v2, v3
	buffer_store_dword v1, v0, s[12:15], 0 offen offset:64
	buffer_load_dword v1, off, s[0:3], 0 offset:196
	s_nop 0
	buffer_load_dword v2, off, s[0:3], 0 offset:200
	buffer_load_dword v3, off, s[0:3], 0 offset:204
	;; [unrolled: 1-line block ×3, first 2 shown]
	v_add_u32_e32 v0, s33, v0
	v_add_u32_e32 v5, 64, v0
	s_waitcnt vmcnt(3)
	v_lshlrev_b32_e32 v1, 8, v1
	s_waitcnt vmcnt(2)
	v_lshlrev_b32_e32 v2, 16, v2
	;; [unrolled: 2-line block ×3, first 2 shown]
	v_and_b32_e32 v2, 0xff0000, v2
	s_waitcnt vmcnt(0)
	v_perm_b32 v1, v1, v4, s4
	v_or3_b32 v1, v1, v2, v3
	buffer_store_dword v1, v5, s[12:15], 0 offen
	buffer_load_dword v1, off, s[0:3], 0 offset:180
	s_nop 0
	buffer_load_dword v2, off, s[0:3], 0 offset:184
	buffer_load_dword v3, off, s[0:3], 0 offset:188
	;; [unrolled: 1-line block ×3, first 2 shown]
	s_waitcnt vmcnt(3)
	v_lshlrev_b32_e32 v1, 8, v1
	s_waitcnt vmcnt(2)
	v_lshlrev_b32_e32 v2, 16, v2
	;; [unrolled: 2-line block ×3, first 2 shown]
	v_and_b32_e32 v2, 0xff0000, v2
	s_waitcnt vmcnt(0)
	v_perm_b32 v1, v1, v4, s4
	v_or3_b32 v1, v1, v2, v3
	buffer_store_dword v1, v0, s[12:15], 0 offen
	buffer_load_dword v1, off, s[0:3], 0 offset:212
	s_nop 0
	buffer_load_dword v2, off, s[0:3], 0 offset:216
	buffer_load_dword v3, off, s[0:3], 0 offset:220
	;; [unrolled: 1-line block ×3, first 2 shown]
	v_add_u32_e32 v0, s33, v0
	v_add_u32_e32 v5, 64, v0
	;; [unrolled: 1-line block ×3, first 2 shown]
	s_waitcnt vmcnt(3)
	v_lshlrev_b32_e32 v1, 8, v1
	s_waitcnt vmcnt(2)
	v_lshlrev_b32_e32 v2, 16, v2
	;; [unrolled: 2-line block ×3, first 2 shown]
	v_and_b32_e32 v2, 0xff0000, v2
	s_waitcnt vmcnt(0)
	v_perm_b32 v1, v1, v4, s4
	v_or3_b32 v1, v1, v2, v3
	buffer_store_dword v1, v0, s[12:15], 0 offen
	buffer_load_dword v1, off, s[0:3], 0 offset:228
	s_nop 0
	buffer_load_dword v2, off, s[0:3], 0 offset:232
	buffer_load_dword v3, off, s[0:3], 0 offset:236
	;; [unrolled: 1-line block ×3, first 2 shown]
	s_waitcnt vmcnt(3)
	v_lshlrev_b32_e32 v1, 8, v1
	s_waitcnt vmcnt(2)
	v_lshlrev_b32_e32 v2, 16, v2
	;; [unrolled: 2-line block ×3, first 2 shown]
	v_and_b32_e32 v2, 0xff0000, v2
	s_waitcnt vmcnt(0)
	v_perm_b32 v1, v1, v4, s4
	v_or3_b32 v1, v1, v2, v3
	buffer_store_dword v1, v0, s[12:15], 0 offen offset:64
	buffer_load_dword v1, off, s[0:3], 0 offset:260
	s_nop 0
	buffer_load_dword v2, off, s[0:3], 0 offset:264
	buffer_load_dword v3, off, s[0:3], 0 offset:268
	;; [unrolled: 1-line block ×3, first 2 shown]
	v_add_u32_e32 v0, s33, v0
	s_waitcnt vmcnt(3)
	v_lshlrev_b32_e32 v1, 8, v1
	s_waitcnt vmcnt(2)
	v_lshlrev_b32_e32 v2, 16, v2
	;; [unrolled: 2-line block ×3, first 2 shown]
	v_and_b32_e32 v2, 0xff0000, v2
	s_waitcnt vmcnt(0)
	v_perm_b32 v1, v1, v4, s4
	v_or3_b32 v1, v1, v2, v3
	buffer_store_dword v1, v6, s[12:15], 0 offen
	buffer_load_dword v1, off, s[0:3], 0 offset:244
	s_nop 0
	buffer_load_dword v2, off, s[0:3], 0 offset:248
	buffer_load_dword v3, off, s[0:3], 0 offset:252
	;; [unrolled: 1-line block ×3, first 2 shown]
	s_waitcnt vmcnt(3)
	v_lshlrev_b32_e32 v1, 8, v1
	s_waitcnt vmcnt(2)
	v_lshlrev_b32_e32 v2, 16, v2
	;; [unrolled: 2-line block ×3, first 2 shown]
	v_and_b32_e32 v2, 0xff0000, v2
	s_waitcnt vmcnt(0)
	v_perm_b32 v1, v1, v4, s4
	v_or3_b32 v1, v1, v2, v3
	buffer_store_dword v1, v0, s[12:15], 0 offen
	buffer_load_dword v1, off, s[0:3], 0 offset:372
	s_nop 0
	buffer_load_dword v2, off, s[0:3], 0 offset:376
	buffer_load_dword v3, off, s[0:3], 0 offset:380
	;; [unrolled: 1-line block ×3, first 2 shown]
	v_add_u32_e32 v0, s5, v0
	s_waitcnt vmcnt(3)
	v_lshlrev_b32_e32 v1, 8, v1
	s_waitcnt vmcnt(2)
	v_lshlrev_b32_e32 v2, 16, v2
	;; [unrolled: 2-line block ×3, first 2 shown]
	v_and_b32_e32 v2, 0xff0000, v2
	s_waitcnt vmcnt(0)
	v_perm_b32 v1, v1, v4, s4
	v_or3_b32 v1, v1, v2, v3
	buffer_store_dword v1, v0, s[12:15], 0 offen
	buffer_load_dword v1, off, s[0:3], 0 offset:388
	s_nop 0
	buffer_load_dword v2, off, s[0:3], 0 offset:392
	buffer_load_dword v3, off, s[0:3], 0 offset:396
	;; [unrolled: 1-line block ×3, first 2 shown]
	s_waitcnt vmcnt(3)
	v_lshlrev_b32_e32 v1, 8, v1
	s_waitcnt vmcnt(2)
	v_lshlrev_b32_e32 v2, 16, v2
	;; [unrolled: 2-line block ×3, first 2 shown]
	v_and_b32_e32 v2, 0xff0000, v2
	s_waitcnt vmcnt(0)
	v_perm_b32 v1, v1, v4, s4
	v_or3_b32 v1, v1, v2, v3
	buffer_store_dword v1, v0, s[12:15], 0 offen offset:64
	buffer_load_dword v0, off, s[0:3], 0 offset:356
	s_nop 0
	buffer_load_dword v1, off, s[0:3], 0 offset:360
	buffer_load_dword v2, off, s[0:3], 0 offset:364
	;; [unrolled: 1-line block ×3, first 2 shown]
	v_add_u32_e32 v4, s5, v5
	s_waitcnt vmcnt(3)
	v_lshlrev_b32_e32 v0, 8, v0
	s_waitcnt vmcnt(2)
	v_lshlrev_b32_e32 v1, 16, v1
	;; [unrolled: 2-line block ×3, first 2 shown]
	v_and_b32_e32 v1, 0xff0000, v1
	s_waitcnt vmcnt(0)
	v_perm_b32 v0, v0, v3, s4
	v_or3_b32 v0, v0, v1, v2
	buffer_store_dword v0, v4, s[12:15], 0 offen
	buffer_load_dword v0, off, s[0:3], 0 offset:340
	s_nop 0
	buffer_load_dword v1, off, s[0:3], 0 offset:344
	buffer_load_dword v2, off, s[0:3], 0 offset:348
	buffer_load_dword v3, off, s[0:3], 0 offset:336
	v_subrev_u32_e32 v4, 64, v4
	s_waitcnt vmcnt(3)
	v_lshlrev_b32_e32 v0, 8, v0
	s_waitcnt vmcnt(2)
	v_lshlrev_b32_e32 v1, 16, v1
	;; [unrolled: 2-line block ×3, first 2 shown]
	v_and_b32_e32 v1, 0xff0000, v1
	s_waitcnt vmcnt(0)
	v_perm_b32 v0, v0, v3, s4
	v_or3_b32 v0, v0, v1, v2
	buffer_store_dword v0, v4, s[12:15], 0 offen
	buffer_load_dword v0, off, s[0:3], 0 offset:308
	s_nop 0
	buffer_load_dword v1, off, s[0:3], 0 offset:312
	buffer_load_dword v2, off, s[0:3], 0 offset:316
	;; [unrolled: 1-line block ×3, first 2 shown]
	v_subrev_u32_e32 v4, s33, v4
	s_waitcnt vmcnt(3)
	v_lshlrev_b32_e32 v0, 8, v0
	s_waitcnt vmcnt(2)
	v_lshlrev_b32_e32 v1, 16, v1
	;; [unrolled: 2-line block ×3, first 2 shown]
	v_and_b32_e32 v1, 0xff0000, v1
	s_waitcnt vmcnt(0)
	v_perm_b32 v0, v0, v3, s4
	v_or3_b32 v0, v0, v1, v2
	buffer_store_dword v0, v4, s[12:15], 0 offen
	buffer_load_dword v0, off, s[0:3], 0 offset:324
	s_nop 0
	buffer_load_dword v1, off, s[0:3], 0 offset:328
	buffer_load_dword v2, off, s[0:3], 0 offset:332
	;; [unrolled: 1-line block ×3, first 2 shown]
	s_waitcnt vmcnt(3)
	v_lshlrev_b32_e32 v0, 8, v0
	s_waitcnt vmcnt(2)
	v_lshlrev_b32_e32 v1, 16, v1
	;; [unrolled: 2-line block ×3, first 2 shown]
	v_and_b32_e32 v1, 0xff0000, v1
	s_waitcnt vmcnt(0)
	v_perm_b32 v0, v0, v3, s4
	v_or3_b32 v0, v0, v1, v2
	buffer_store_dword v0, v4, s[12:15], 0 offen offset:64
	buffer_load_dword v0, off, s[0:3], 0 offset:292
	s_nop 0
	buffer_load_dword v1, off, s[0:3], 0 offset:296
	buffer_load_dword v2, off, s[0:3], 0 offset:300
	;; [unrolled: 1-line block ×3, first 2 shown]
	v_subrev_u32_e32 v4, s33, v4
	v_add_u32_e32 v5, 64, v4
	s_waitcnt vmcnt(3)
	v_lshlrev_b32_e32 v0, 8, v0
	s_waitcnt vmcnt(2)
	v_lshlrev_b32_e32 v1, 16, v1
	;; [unrolled: 2-line block ×3, first 2 shown]
	v_and_b32_e32 v1, 0xff0000, v1
	s_waitcnt vmcnt(0)
	v_perm_b32 v0, v0, v3, s4
	v_or3_b32 v0, v0, v1, v2
	buffer_store_dword v0, v5, s[12:15], 0 offen
	buffer_load_dword v0, off, s[0:3], 0 offset:276
	s_nop 0
	buffer_load_dword v1, off, s[0:3], 0 offset:280
	buffer_load_dword v2, off, s[0:3], 0 offset:272
	;; [unrolled: 1-line block ×3, first 2 shown]
	s_waitcnt vmcnt(3)
	v_lshlrev_b32_e32 v0, 8, v0
	s_waitcnt vmcnt(2)
	v_lshlrev_b32_e32 v1, 16, v1
	v_and_b32_e32 v1, 0xff0000, v1
	s_waitcnt vmcnt(1)
	v_perm_b32 v0, v0, v2, s4
	s_waitcnt vmcnt(0)
	v_lshlrev_b32_e32 v2, 24, v3
	v_or3_b32 v0, v0, v1, v2
	buffer_store_dword v0, v4, s[12:15], 0 offen
	s_endpgm
	.section	.rodata,"a",@progbits
	.p2align	6, 0x0
	.amdhsa_kernel _ZN2ck19kernel_gemm_dl_v1r3INS_28GridwiseGemmDl_km_kn_mn_v1r3ILi256EaiaLNS_25InMemoryDataOperationEnumE0ENS_16TensorDescriptorINS_5TupleIJNS_5EmbedINS4_IJiiEEENS4_IJNS_17integral_constantIiLi1EEEiEEELb0EEENS_7UnMergeINS4_IJiNS7_IiLi4EEEEEELb0EEENS_11PassThroughIiEEEEENS4_IJNS_8SequenceIJLi0EEEENSI_IJLi2EEEENSI_IJLi1EEEEEEENS4_IJNSI_IJLi1ELi2EEEENSI_IJLi3ELi4EEEENSI_IJLi5EEEEEEENSI_IJLi3ELi5ELi4EEEElEENS3_INS4_IJNS5_IS6_NS4_IJiS8_EEELb0EEESE_SG_EEENS4_IJSJ_SL_SK_EEESQ_SR_lEENS3_INS4_IJSU_SG_SG_EEESW_NS4_IJSN_NSI_IJLi3EEEENSI_IJLi4EEEEEEESO_lEELi128ELi128ELi16ELi4ELi4ELi4ELi1ENSI_IJLi8ELi2EEEES13_NSI_IJLi2ELi1ELi4ELi4EEEENSI_IJLi8ELi1ELi32ELi1EEEENSI_IJLi0ELi3ELi1ELi2EEEES16_NSI_IJLi1ELi1ELi4ELi1EEEES16_NSI_IJLi1ELi1ELi4ELi4EEEES14_S15_S16_S16_S17_S16_S18_NSI_IJLi0ELi1ELi2ELi3ELi4ELi5EEEELi5ELi4EEEaaNS3_INS4_IJSA_SE_SG_SG_NSB_INS4_IJiNS7_IiLi128EEEEEELb0EEENSF_ISC_EEEEENS4_IJSJ_SK_SL_SZ_SP_S10_EEENS4_IJSN_SO_SP_NSI_IJLi6EEEENSI_IJLi7ELi8EEEENSI_IJLi9EEEEEEENSI_IJLi6ELi7ELi8ELi9EEEElEENS3_INS4_IJSU_SE_SG_SG_S1D_S1E_EEENS4_IJSJ_SL_SK_SZ_SP_S10_EEES1K_S1L_lEENS3_INS4_IJSU_SG_SG_NSB_INS4_IJiNS7_IiLi2EEENS7_IiLi64EEEEEELb0EEES1T_EEENS4_IJSJ_SL_SK_SZ_S10_EEENS4_IJSN_SZ_S10_NSI_IJLi5ELi6ELi7EEEENSI_IJLi8ELi9ELi10EEEEEEENSI_IJLi5ELi6ELi7ELi8ELi9ELi10EEEElEENS_31BlockToCTileMap_M00_N00_M01_N01ILi128ELi128ES12_Lb0EEELb1ELb1EEEvPKT0_S25_PT1_T2_T3_T4_T5_
		.amdhsa_group_segment_fixed_size 32768
		.amdhsa_private_segment_fixed_size 480
		.amdhsa_kernarg_size 328
		.amdhsa_user_sgpr_count 8
		.amdhsa_user_sgpr_private_segment_buffer 1
		.amdhsa_user_sgpr_dispatch_ptr 0
		.amdhsa_user_sgpr_queue_ptr 0
		.amdhsa_user_sgpr_kernarg_segment_ptr 1
		.amdhsa_user_sgpr_dispatch_id 0
		.amdhsa_user_sgpr_flat_scratch_init 1
		.amdhsa_user_sgpr_kernarg_preload_length 0
		.amdhsa_user_sgpr_kernarg_preload_offset 0
		.amdhsa_user_sgpr_private_segment_size 0
		.amdhsa_uses_dynamic_stack 0
		.amdhsa_system_sgpr_private_segment_wavefront_offset 1
		.amdhsa_system_sgpr_workgroup_id_x 1
		.amdhsa_system_sgpr_workgroup_id_y 0
		.amdhsa_system_sgpr_workgroup_id_z 0
		.amdhsa_system_sgpr_workgroup_info 0
		.amdhsa_system_vgpr_workitem_id 0
		.amdhsa_next_free_vgpr 141
		.amdhsa_next_free_sgpr 50
		.amdhsa_accum_offset 144
		.amdhsa_reserve_vcc 1
		.amdhsa_reserve_flat_scratch 1
		.amdhsa_float_round_mode_32 0
		.amdhsa_float_round_mode_16_64 0
		.amdhsa_float_denorm_mode_32 3
		.amdhsa_float_denorm_mode_16_64 3
		.amdhsa_dx10_clamp 1
		.amdhsa_ieee_mode 1
		.amdhsa_fp16_overflow 0
		.amdhsa_tg_split 0
		.amdhsa_exception_fp_ieee_invalid_op 0
		.amdhsa_exception_fp_denorm_src 0
		.amdhsa_exception_fp_ieee_div_zero 0
		.amdhsa_exception_fp_ieee_overflow 0
		.amdhsa_exception_fp_ieee_underflow 0
		.amdhsa_exception_fp_ieee_inexact 0
		.amdhsa_exception_int_div_zero 0
	.end_amdhsa_kernel
	.section	.text._ZN2ck19kernel_gemm_dl_v1r3INS_28GridwiseGemmDl_km_kn_mn_v1r3ILi256EaiaLNS_25InMemoryDataOperationEnumE0ENS_16TensorDescriptorINS_5TupleIJNS_5EmbedINS4_IJiiEEENS4_IJNS_17integral_constantIiLi1EEEiEEELb0EEENS_7UnMergeINS4_IJiNS7_IiLi4EEEEEELb0EEENS_11PassThroughIiEEEEENS4_IJNS_8SequenceIJLi0EEEENSI_IJLi2EEEENSI_IJLi1EEEEEEENS4_IJNSI_IJLi1ELi2EEEENSI_IJLi3ELi4EEEENSI_IJLi5EEEEEEENSI_IJLi3ELi5ELi4EEEElEENS3_INS4_IJNS5_IS6_NS4_IJiS8_EEELb0EEESE_SG_EEENS4_IJSJ_SL_SK_EEESQ_SR_lEENS3_INS4_IJSU_SG_SG_EEESW_NS4_IJSN_NSI_IJLi3EEEENSI_IJLi4EEEEEEESO_lEELi128ELi128ELi16ELi4ELi4ELi4ELi1ENSI_IJLi8ELi2EEEES13_NSI_IJLi2ELi1ELi4ELi4EEEENSI_IJLi8ELi1ELi32ELi1EEEENSI_IJLi0ELi3ELi1ELi2EEEES16_NSI_IJLi1ELi1ELi4ELi1EEEES16_NSI_IJLi1ELi1ELi4ELi4EEEES14_S15_S16_S16_S17_S16_S18_NSI_IJLi0ELi1ELi2ELi3ELi4ELi5EEEELi5ELi4EEEaaNS3_INS4_IJSA_SE_SG_SG_NSB_INS4_IJiNS7_IiLi128EEEEEELb0EEENSF_ISC_EEEEENS4_IJSJ_SK_SL_SZ_SP_S10_EEENS4_IJSN_SO_SP_NSI_IJLi6EEEENSI_IJLi7ELi8EEEENSI_IJLi9EEEEEEENSI_IJLi6ELi7ELi8ELi9EEEElEENS3_INS4_IJSU_SE_SG_SG_S1D_S1E_EEENS4_IJSJ_SL_SK_SZ_SP_S10_EEES1K_S1L_lEENS3_INS4_IJSU_SG_SG_NSB_INS4_IJiNS7_IiLi2EEENS7_IiLi64EEEEEELb0EEES1T_EEENS4_IJSJ_SL_SK_SZ_S10_EEENS4_IJSN_SZ_S10_NSI_IJLi5ELi6ELi7EEEENSI_IJLi8ELi9ELi10EEEEEEENSI_IJLi5ELi6ELi7ELi8ELi9ELi10EEEElEENS_31BlockToCTileMap_M00_N00_M01_N01ILi128ELi128ES12_Lb0EEELb1ELb1EEEvPKT0_S25_PT1_T2_T3_T4_T5_,"axG",@progbits,_ZN2ck19kernel_gemm_dl_v1r3INS_28GridwiseGemmDl_km_kn_mn_v1r3ILi256EaiaLNS_25InMemoryDataOperationEnumE0ENS_16TensorDescriptorINS_5TupleIJNS_5EmbedINS4_IJiiEEENS4_IJNS_17integral_constantIiLi1EEEiEEELb0EEENS_7UnMergeINS4_IJiNS7_IiLi4EEEEEELb0EEENS_11PassThroughIiEEEEENS4_IJNS_8SequenceIJLi0EEEENSI_IJLi2EEEENSI_IJLi1EEEEEEENS4_IJNSI_IJLi1ELi2EEEENSI_IJLi3ELi4EEEENSI_IJLi5EEEEEEENSI_IJLi3ELi5ELi4EEEElEENS3_INS4_IJNS5_IS6_NS4_IJiS8_EEELb0EEESE_SG_EEENS4_IJSJ_SL_SK_EEESQ_SR_lEENS3_INS4_IJSU_SG_SG_EEESW_NS4_IJSN_NSI_IJLi3EEEENSI_IJLi4EEEEEEESO_lEELi128ELi128ELi16ELi4ELi4ELi4ELi1ENSI_IJLi8ELi2EEEES13_NSI_IJLi2ELi1ELi4ELi4EEEENSI_IJLi8ELi1ELi32ELi1EEEENSI_IJLi0ELi3ELi1ELi2EEEES16_NSI_IJLi1ELi1ELi4ELi1EEEES16_NSI_IJLi1ELi1ELi4ELi4EEEES14_S15_S16_S16_S17_S16_S18_NSI_IJLi0ELi1ELi2ELi3ELi4ELi5EEEELi5ELi4EEEaaNS3_INS4_IJSA_SE_SG_SG_NSB_INS4_IJiNS7_IiLi128EEEEEELb0EEENSF_ISC_EEEEENS4_IJSJ_SK_SL_SZ_SP_S10_EEENS4_IJSN_SO_SP_NSI_IJLi6EEEENSI_IJLi7ELi8EEEENSI_IJLi9EEEEEEENSI_IJLi6ELi7ELi8ELi9EEEElEENS3_INS4_IJSU_SE_SG_SG_S1D_S1E_EEENS4_IJSJ_SL_SK_SZ_SP_S10_EEES1K_S1L_lEENS3_INS4_IJSU_SG_SG_NSB_INS4_IJiNS7_IiLi2EEENS7_IiLi64EEEEEELb0EEES1T_EEENS4_IJSJ_SL_SK_SZ_S10_EEENS4_IJSN_SZ_S10_NSI_IJLi5ELi6ELi7EEEENSI_IJLi8ELi9ELi10EEEEEEENSI_IJLi5ELi6ELi7ELi8ELi9ELi10EEEElEENS_31BlockToCTileMap_M00_N00_M01_N01ILi128ELi128ES12_Lb0EEELb1ELb1EEEvPKT0_S25_PT1_T2_T3_T4_T5_,comdat
.Lfunc_end2:
	.size	_ZN2ck19kernel_gemm_dl_v1r3INS_28GridwiseGemmDl_km_kn_mn_v1r3ILi256EaiaLNS_25InMemoryDataOperationEnumE0ENS_16TensorDescriptorINS_5TupleIJNS_5EmbedINS4_IJiiEEENS4_IJNS_17integral_constantIiLi1EEEiEEELb0EEENS_7UnMergeINS4_IJiNS7_IiLi4EEEEEELb0EEENS_11PassThroughIiEEEEENS4_IJNS_8SequenceIJLi0EEEENSI_IJLi2EEEENSI_IJLi1EEEEEEENS4_IJNSI_IJLi1ELi2EEEENSI_IJLi3ELi4EEEENSI_IJLi5EEEEEEENSI_IJLi3ELi5ELi4EEEElEENS3_INS4_IJNS5_IS6_NS4_IJiS8_EEELb0EEESE_SG_EEENS4_IJSJ_SL_SK_EEESQ_SR_lEENS3_INS4_IJSU_SG_SG_EEESW_NS4_IJSN_NSI_IJLi3EEEENSI_IJLi4EEEEEEESO_lEELi128ELi128ELi16ELi4ELi4ELi4ELi1ENSI_IJLi8ELi2EEEES13_NSI_IJLi2ELi1ELi4ELi4EEEENSI_IJLi8ELi1ELi32ELi1EEEENSI_IJLi0ELi3ELi1ELi2EEEES16_NSI_IJLi1ELi1ELi4ELi1EEEES16_NSI_IJLi1ELi1ELi4ELi4EEEES14_S15_S16_S16_S17_S16_S18_NSI_IJLi0ELi1ELi2ELi3ELi4ELi5EEEELi5ELi4EEEaaNS3_INS4_IJSA_SE_SG_SG_NSB_INS4_IJiNS7_IiLi128EEEEEELb0EEENSF_ISC_EEEEENS4_IJSJ_SK_SL_SZ_SP_S10_EEENS4_IJSN_SO_SP_NSI_IJLi6EEEENSI_IJLi7ELi8EEEENSI_IJLi9EEEEEEENSI_IJLi6ELi7ELi8ELi9EEEElEENS3_INS4_IJSU_SE_SG_SG_S1D_S1E_EEENS4_IJSJ_SL_SK_SZ_SP_S10_EEES1K_S1L_lEENS3_INS4_IJSU_SG_SG_NSB_INS4_IJiNS7_IiLi2EEENS7_IiLi64EEEEEELb0EEES1T_EEENS4_IJSJ_SL_SK_SZ_S10_EEENS4_IJSN_SZ_S10_NSI_IJLi5ELi6ELi7EEEENSI_IJLi8ELi9ELi10EEEEEEENSI_IJLi5ELi6ELi7ELi8ELi9ELi10EEEElEENS_31BlockToCTileMap_M00_N00_M01_N01ILi128ELi128ES12_Lb0EEELb1ELb1EEEvPKT0_S25_PT1_T2_T3_T4_T5_, .Lfunc_end2-_ZN2ck19kernel_gemm_dl_v1r3INS_28GridwiseGemmDl_km_kn_mn_v1r3ILi256EaiaLNS_25InMemoryDataOperationEnumE0ENS_16TensorDescriptorINS_5TupleIJNS_5EmbedINS4_IJiiEEENS4_IJNS_17integral_constantIiLi1EEEiEEELb0EEENS_7UnMergeINS4_IJiNS7_IiLi4EEEEEELb0EEENS_11PassThroughIiEEEEENS4_IJNS_8SequenceIJLi0EEEENSI_IJLi2EEEENSI_IJLi1EEEEEEENS4_IJNSI_IJLi1ELi2EEEENSI_IJLi3ELi4EEEENSI_IJLi5EEEEEEENSI_IJLi3ELi5ELi4EEEElEENS3_INS4_IJNS5_IS6_NS4_IJiS8_EEELb0EEESE_SG_EEENS4_IJSJ_SL_SK_EEESQ_SR_lEENS3_INS4_IJSU_SG_SG_EEESW_NS4_IJSN_NSI_IJLi3EEEENSI_IJLi4EEEEEEESO_lEELi128ELi128ELi16ELi4ELi4ELi4ELi1ENSI_IJLi8ELi2EEEES13_NSI_IJLi2ELi1ELi4ELi4EEEENSI_IJLi8ELi1ELi32ELi1EEEENSI_IJLi0ELi3ELi1ELi2EEEES16_NSI_IJLi1ELi1ELi4ELi1EEEES16_NSI_IJLi1ELi1ELi4ELi4EEEES14_S15_S16_S16_S17_S16_S18_NSI_IJLi0ELi1ELi2ELi3ELi4ELi5EEEELi5ELi4EEEaaNS3_INS4_IJSA_SE_SG_SG_NSB_INS4_IJiNS7_IiLi128EEEEEELb0EEENSF_ISC_EEEEENS4_IJSJ_SK_SL_SZ_SP_S10_EEENS4_IJSN_SO_SP_NSI_IJLi6EEEENSI_IJLi7ELi8EEEENSI_IJLi9EEEEEEENSI_IJLi6ELi7ELi8ELi9EEEElEENS3_INS4_IJSU_SE_SG_SG_S1D_S1E_EEENS4_IJSJ_SL_SK_SZ_SP_S10_EEES1K_S1L_lEENS3_INS4_IJSU_SG_SG_NSB_INS4_IJiNS7_IiLi2EEENS7_IiLi64EEEEEELb0EEES1T_EEENS4_IJSJ_SL_SK_SZ_S10_EEENS4_IJSN_SZ_S10_NSI_IJLi5ELi6ELi7EEEENSI_IJLi8ELi9ELi10EEEEEEENSI_IJLi5ELi6ELi7ELi8ELi9ELi10EEEElEENS_31BlockToCTileMap_M00_N00_M01_N01ILi128ELi128ES12_Lb0EEELb1ELb1EEEvPKT0_S25_PT1_T2_T3_T4_T5_
                                        ; -- End function
	.section	.AMDGPU.csdata,"",@progbits
; Kernel info:
; codeLenInByte = 15248
; NumSgprs: 56
; NumVgprs: 141
; NumAgprs: 0
; TotalNumVgprs: 141
; ScratchSize: 480
; MemoryBound: 0
; FloatMode: 240
; IeeeMode: 1
; LDSByteSize: 32768 bytes/workgroup (compile time only)
; SGPRBlocks: 6
; VGPRBlocks: 17
; NumSGPRsForWavesPerEU: 56
; NumVGPRsForWavesPerEU: 141
; AccumOffset: 144
; Occupancy: 2
; WaveLimiterHint : 1
; COMPUTE_PGM_RSRC2:SCRATCH_EN: 1
; COMPUTE_PGM_RSRC2:USER_SGPR: 8
; COMPUTE_PGM_RSRC2:TRAP_HANDLER: 0
; COMPUTE_PGM_RSRC2:TGID_X_EN: 1
; COMPUTE_PGM_RSRC2:TGID_Y_EN: 0
; COMPUTE_PGM_RSRC2:TGID_Z_EN: 0
; COMPUTE_PGM_RSRC2:TIDIG_COMP_CNT: 0
; COMPUTE_PGM_RSRC3_GFX90A:ACCUM_OFFSET: 35
; COMPUTE_PGM_RSRC3_GFX90A:TG_SPLIT: 0
	.section	.text._ZN2ck19kernel_gemm_dl_v1r3INS_28GridwiseGemmDl_km_kn_mn_v1r3ILi256EaiaLNS_25InMemoryDataOperationEnumE0ENS_16TensorDescriptorINS_5TupleIJNS_5EmbedINS4_IJiiEEENS4_IJNS_17integral_constantIiLi1EEEiEEELb0EEENS_7UnMergeINS4_IJiNS7_IiLi4EEEEEELb0EEENS_11PassThroughIiEEEEENS4_IJNS_8SequenceIJLi0EEEENSI_IJLi2EEEENSI_IJLi1EEEEEEENS4_IJNSI_IJLi1ELi2EEEENSI_IJLi3ELi4EEEENSI_IJLi5EEEEEEENSI_IJLi3ELi5ELi4EEEElEENS3_INS4_IJNS5_IS6_NS4_IJiS8_EEELb0EEESE_SG_EEENS4_IJSJ_SL_SK_EEESQ_SR_lEENS3_INS4_IJSU_SG_SG_EEESW_NS4_IJSN_NSI_IJLi3EEEENSI_IJLi4EEEEEEESO_lEELi128ELi128ELi16ELi4ELi4ELi4ELi1ENSI_IJLi8ELi2EEEES13_NSI_IJLi2ELi1ELi4ELi4EEEENSI_IJLi8ELi1ELi32ELi1EEEENSI_IJLi0ELi3ELi1ELi2EEEES16_NSI_IJLi1ELi1ELi4ELi1EEEES16_NSI_IJLi1ELi1ELi4ELi4EEEES14_S15_S16_S16_S17_S16_S18_NSI_IJLi0ELi1ELi2ELi3ELi4ELi5EEEELi5ELi4EEEaaNS3_INS4_IJSA_SE_SG_SG_NSB_INS4_IJiNS7_IiLi128EEEEEELb0EEENSF_ISC_EEEEENS4_IJSJ_SK_SL_SZ_SP_S10_EEENS4_IJSN_SO_SP_NSI_IJLi6EEEENSI_IJLi7ELi8EEEENSI_IJLi9EEEEEEENSI_IJLi6ELi7ELi8ELi9EEEElEENS3_INS4_IJSU_SE_SG_SG_S1D_S1E_EEENS4_IJSJ_SL_SK_SZ_SP_S10_EEES1K_S1L_lEENS3_INS4_IJSU_SG_SG_NSB_INS4_IJiNS7_IiLi2EEENS7_IiLi64EEEEEELb0EEES1T_EEENS4_IJSJ_SL_SK_SZ_S10_EEENS4_IJSN_SZ_S10_NSI_IJLi5ELi6ELi7EEEENSI_IJLi8ELi9ELi10EEEEEEENSI_IJLi5ELi6ELi7ELi8ELi9ELi10EEEElEENS_31BlockToCTileMap_M00_N00_M01_N01ILi128ELi128ES12_Lb0EEELb1ELb0EEEvPKT0_S25_PT1_T2_T3_T4_T5_,"axG",@progbits,_ZN2ck19kernel_gemm_dl_v1r3INS_28GridwiseGemmDl_km_kn_mn_v1r3ILi256EaiaLNS_25InMemoryDataOperationEnumE0ENS_16TensorDescriptorINS_5TupleIJNS_5EmbedINS4_IJiiEEENS4_IJNS_17integral_constantIiLi1EEEiEEELb0EEENS_7UnMergeINS4_IJiNS7_IiLi4EEEEEELb0EEENS_11PassThroughIiEEEEENS4_IJNS_8SequenceIJLi0EEEENSI_IJLi2EEEENSI_IJLi1EEEEEEENS4_IJNSI_IJLi1ELi2EEEENSI_IJLi3ELi4EEEENSI_IJLi5EEEEEEENSI_IJLi3ELi5ELi4EEEElEENS3_INS4_IJNS5_IS6_NS4_IJiS8_EEELb0EEESE_SG_EEENS4_IJSJ_SL_SK_EEESQ_SR_lEENS3_INS4_IJSU_SG_SG_EEESW_NS4_IJSN_NSI_IJLi3EEEENSI_IJLi4EEEEEEESO_lEELi128ELi128ELi16ELi4ELi4ELi4ELi1ENSI_IJLi8ELi2EEEES13_NSI_IJLi2ELi1ELi4ELi4EEEENSI_IJLi8ELi1ELi32ELi1EEEENSI_IJLi0ELi3ELi1ELi2EEEES16_NSI_IJLi1ELi1ELi4ELi1EEEES16_NSI_IJLi1ELi1ELi4ELi4EEEES14_S15_S16_S16_S17_S16_S18_NSI_IJLi0ELi1ELi2ELi3ELi4ELi5EEEELi5ELi4EEEaaNS3_INS4_IJSA_SE_SG_SG_NSB_INS4_IJiNS7_IiLi128EEEEEELb0EEENSF_ISC_EEEEENS4_IJSJ_SK_SL_SZ_SP_S10_EEENS4_IJSN_SO_SP_NSI_IJLi6EEEENSI_IJLi7ELi8EEEENSI_IJLi9EEEEEEENSI_IJLi6ELi7ELi8ELi9EEEElEENS3_INS4_IJSU_SE_SG_SG_S1D_S1E_EEENS4_IJSJ_SL_SK_SZ_SP_S10_EEES1K_S1L_lEENS3_INS4_IJSU_SG_SG_NSB_INS4_IJiNS7_IiLi2EEENS7_IiLi64EEEEEELb0EEES1T_EEENS4_IJSJ_SL_SK_SZ_S10_EEENS4_IJSN_SZ_S10_NSI_IJLi5ELi6ELi7EEEENSI_IJLi8ELi9ELi10EEEEEEENSI_IJLi5ELi6ELi7ELi8ELi9ELi10EEEElEENS_31BlockToCTileMap_M00_N00_M01_N01ILi128ELi128ES12_Lb0EEELb1ELb0EEEvPKT0_S25_PT1_T2_T3_T4_T5_,comdat
	.protected	_ZN2ck19kernel_gemm_dl_v1r3INS_28GridwiseGemmDl_km_kn_mn_v1r3ILi256EaiaLNS_25InMemoryDataOperationEnumE0ENS_16TensorDescriptorINS_5TupleIJNS_5EmbedINS4_IJiiEEENS4_IJNS_17integral_constantIiLi1EEEiEEELb0EEENS_7UnMergeINS4_IJiNS7_IiLi4EEEEEELb0EEENS_11PassThroughIiEEEEENS4_IJNS_8SequenceIJLi0EEEENSI_IJLi2EEEENSI_IJLi1EEEEEEENS4_IJNSI_IJLi1ELi2EEEENSI_IJLi3ELi4EEEENSI_IJLi5EEEEEEENSI_IJLi3ELi5ELi4EEEElEENS3_INS4_IJNS5_IS6_NS4_IJiS8_EEELb0EEESE_SG_EEENS4_IJSJ_SL_SK_EEESQ_SR_lEENS3_INS4_IJSU_SG_SG_EEESW_NS4_IJSN_NSI_IJLi3EEEENSI_IJLi4EEEEEEESO_lEELi128ELi128ELi16ELi4ELi4ELi4ELi1ENSI_IJLi8ELi2EEEES13_NSI_IJLi2ELi1ELi4ELi4EEEENSI_IJLi8ELi1ELi32ELi1EEEENSI_IJLi0ELi3ELi1ELi2EEEES16_NSI_IJLi1ELi1ELi4ELi1EEEES16_NSI_IJLi1ELi1ELi4ELi4EEEES14_S15_S16_S16_S17_S16_S18_NSI_IJLi0ELi1ELi2ELi3ELi4ELi5EEEELi5ELi4EEEaaNS3_INS4_IJSA_SE_SG_SG_NSB_INS4_IJiNS7_IiLi128EEEEEELb0EEENSF_ISC_EEEEENS4_IJSJ_SK_SL_SZ_SP_S10_EEENS4_IJSN_SO_SP_NSI_IJLi6EEEENSI_IJLi7ELi8EEEENSI_IJLi9EEEEEEENSI_IJLi6ELi7ELi8ELi9EEEElEENS3_INS4_IJSU_SE_SG_SG_S1D_S1E_EEENS4_IJSJ_SL_SK_SZ_SP_S10_EEES1K_S1L_lEENS3_INS4_IJSU_SG_SG_NSB_INS4_IJiNS7_IiLi2EEENS7_IiLi64EEEEEELb0EEES1T_EEENS4_IJSJ_SL_SK_SZ_S10_EEENS4_IJSN_SZ_S10_NSI_IJLi5ELi6ELi7EEEENSI_IJLi8ELi9ELi10EEEEEEENSI_IJLi5ELi6ELi7ELi8ELi9ELi10EEEElEENS_31BlockToCTileMap_M00_N00_M01_N01ILi128ELi128ES12_Lb0EEELb1ELb0EEEvPKT0_S25_PT1_T2_T3_T4_T5_ ; -- Begin function _ZN2ck19kernel_gemm_dl_v1r3INS_28GridwiseGemmDl_km_kn_mn_v1r3ILi256EaiaLNS_25InMemoryDataOperationEnumE0ENS_16TensorDescriptorINS_5TupleIJNS_5EmbedINS4_IJiiEEENS4_IJNS_17integral_constantIiLi1EEEiEEELb0EEENS_7UnMergeINS4_IJiNS7_IiLi4EEEEEELb0EEENS_11PassThroughIiEEEEENS4_IJNS_8SequenceIJLi0EEEENSI_IJLi2EEEENSI_IJLi1EEEEEEENS4_IJNSI_IJLi1ELi2EEEENSI_IJLi3ELi4EEEENSI_IJLi5EEEEEEENSI_IJLi3ELi5ELi4EEEElEENS3_INS4_IJNS5_IS6_NS4_IJiS8_EEELb0EEESE_SG_EEENS4_IJSJ_SL_SK_EEESQ_SR_lEENS3_INS4_IJSU_SG_SG_EEESW_NS4_IJSN_NSI_IJLi3EEEENSI_IJLi4EEEEEEESO_lEELi128ELi128ELi16ELi4ELi4ELi4ELi1ENSI_IJLi8ELi2EEEES13_NSI_IJLi2ELi1ELi4ELi4EEEENSI_IJLi8ELi1ELi32ELi1EEEENSI_IJLi0ELi3ELi1ELi2EEEES16_NSI_IJLi1ELi1ELi4ELi1EEEES16_NSI_IJLi1ELi1ELi4ELi4EEEES14_S15_S16_S16_S17_S16_S18_NSI_IJLi0ELi1ELi2ELi3ELi4ELi5EEEELi5ELi4EEEaaNS3_INS4_IJSA_SE_SG_SG_NSB_INS4_IJiNS7_IiLi128EEEEEELb0EEENSF_ISC_EEEEENS4_IJSJ_SK_SL_SZ_SP_S10_EEENS4_IJSN_SO_SP_NSI_IJLi6EEEENSI_IJLi7ELi8EEEENSI_IJLi9EEEEEEENSI_IJLi6ELi7ELi8ELi9EEEElEENS3_INS4_IJSU_SE_SG_SG_S1D_S1E_EEENS4_IJSJ_SL_SK_SZ_SP_S10_EEES1K_S1L_lEENS3_INS4_IJSU_SG_SG_NSB_INS4_IJiNS7_IiLi2EEENS7_IiLi64EEEEEELb0EEES1T_EEENS4_IJSJ_SL_SK_SZ_S10_EEENS4_IJSN_SZ_S10_NSI_IJLi5ELi6ELi7EEEENSI_IJLi8ELi9ELi10EEEEEEENSI_IJLi5ELi6ELi7ELi8ELi9ELi10EEEElEENS_31BlockToCTileMap_M00_N00_M01_N01ILi128ELi128ES12_Lb0EEELb1ELb0EEEvPKT0_S25_PT1_T2_T3_T4_T5_
	.globl	_ZN2ck19kernel_gemm_dl_v1r3INS_28GridwiseGemmDl_km_kn_mn_v1r3ILi256EaiaLNS_25InMemoryDataOperationEnumE0ENS_16TensorDescriptorINS_5TupleIJNS_5EmbedINS4_IJiiEEENS4_IJNS_17integral_constantIiLi1EEEiEEELb0EEENS_7UnMergeINS4_IJiNS7_IiLi4EEEEEELb0EEENS_11PassThroughIiEEEEENS4_IJNS_8SequenceIJLi0EEEENSI_IJLi2EEEENSI_IJLi1EEEEEEENS4_IJNSI_IJLi1ELi2EEEENSI_IJLi3ELi4EEEENSI_IJLi5EEEEEEENSI_IJLi3ELi5ELi4EEEElEENS3_INS4_IJNS5_IS6_NS4_IJiS8_EEELb0EEESE_SG_EEENS4_IJSJ_SL_SK_EEESQ_SR_lEENS3_INS4_IJSU_SG_SG_EEESW_NS4_IJSN_NSI_IJLi3EEEENSI_IJLi4EEEEEEESO_lEELi128ELi128ELi16ELi4ELi4ELi4ELi1ENSI_IJLi8ELi2EEEES13_NSI_IJLi2ELi1ELi4ELi4EEEENSI_IJLi8ELi1ELi32ELi1EEEENSI_IJLi0ELi3ELi1ELi2EEEES16_NSI_IJLi1ELi1ELi4ELi1EEEES16_NSI_IJLi1ELi1ELi4ELi4EEEES14_S15_S16_S16_S17_S16_S18_NSI_IJLi0ELi1ELi2ELi3ELi4ELi5EEEELi5ELi4EEEaaNS3_INS4_IJSA_SE_SG_SG_NSB_INS4_IJiNS7_IiLi128EEEEEELb0EEENSF_ISC_EEEEENS4_IJSJ_SK_SL_SZ_SP_S10_EEENS4_IJSN_SO_SP_NSI_IJLi6EEEENSI_IJLi7ELi8EEEENSI_IJLi9EEEEEEENSI_IJLi6ELi7ELi8ELi9EEEElEENS3_INS4_IJSU_SE_SG_SG_S1D_S1E_EEENS4_IJSJ_SL_SK_SZ_SP_S10_EEES1K_S1L_lEENS3_INS4_IJSU_SG_SG_NSB_INS4_IJiNS7_IiLi2EEENS7_IiLi64EEEEEELb0EEES1T_EEENS4_IJSJ_SL_SK_SZ_S10_EEENS4_IJSN_SZ_S10_NSI_IJLi5ELi6ELi7EEEENSI_IJLi8ELi9ELi10EEEEEEENSI_IJLi5ELi6ELi7ELi8ELi9ELi10EEEElEENS_31BlockToCTileMap_M00_N00_M01_N01ILi128ELi128ES12_Lb0EEELb1ELb0EEEvPKT0_S25_PT1_T2_T3_T4_T5_
	.p2align	8
	.type	_ZN2ck19kernel_gemm_dl_v1r3INS_28GridwiseGemmDl_km_kn_mn_v1r3ILi256EaiaLNS_25InMemoryDataOperationEnumE0ENS_16TensorDescriptorINS_5TupleIJNS_5EmbedINS4_IJiiEEENS4_IJNS_17integral_constantIiLi1EEEiEEELb0EEENS_7UnMergeINS4_IJiNS7_IiLi4EEEEEELb0EEENS_11PassThroughIiEEEEENS4_IJNS_8SequenceIJLi0EEEENSI_IJLi2EEEENSI_IJLi1EEEEEEENS4_IJNSI_IJLi1ELi2EEEENSI_IJLi3ELi4EEEENSI_IJLi5EEEEEEENSI_IJLi3ELi5ELi4EEEElEENS3_INS4_IJNS5_IS6_NS4_IJiS8_EEELb0EEESE_SG_EEENS4_IJSJ_SL_SK_EEESQ_SR_lEENS3_INS4_IJSU_SG_SG_EEESW_NS4_IJSN_NSI_IJLi3EEEENSI_IJLi4EEEEEEESO_lEELi128ELi128ELi16ELi4ELi4ELi4ELi1ENSI_IJLi8ELi2EEEES13_NSI_IJLi2ELi1ELi4ELi4EEEENSI_IJLi8ELi1ELi32ELi1EEEENSI_IJLi0ELi3ELi1ELi2EEEES16_NSI_IJLi1ELi1ELi4ELi1EEEES16_NSI_IJLi1ELi1ELi4ELi4EEEES14_S15_S16_S16_S17_S16_S18_NSI_IJLi0ELi1ELi2ELi3ELi4ELi5EEEELi5ELi4EEEaaNS3_INS4_IJSA_SE_SG_SG_NSB_INS4_IJiNS7_IiLi128EEEEEELb0EEENSF_ISC_EEEEENS4_IJSJ_SK_SL_SZ_SP_S10_EEENS4_IJSN_SO_SP_NSI_IJLi6EEEENSI_IJLi7ELi8EEEENSI_IJLi9EEEEEEENSI_IJLi6ELi7ELi8ELi9EEEElEENS3_INS4_IJSU_SE_SG_SG_S1D_S1E_EEENS4_IJSJ_SL_SK_SZ_SP_S10_EEES1K_S1L_lEENS3_INS4_IJSU_SG_SG_NSB_INS4_IJiNS7_IiLi2EEENS7_IiLi64EEEEEELb0EEES1T_EEENS4_IJSJ_SL_SK_SZ_S10_EEENS4_IJSN_SZ_S10_NSI_IJLi5ELi6ELi7EEEENSI_IJLi8ELi9ELi10EEEEEEENSI_IJLi5ELi6ELi7ELi8ELi9ELi10EEEElEENS_31BlockToCTileMap_M00_N00_M01_N01ILi128ELi128ES12_Lb0EEELb1ELb0EEEvPKT0_S25_PT1_T2_T3_T4_T5_,@function
_ZN2ck19kernel_gemm_dl_v1r3INS_28GridwiseGemmDl_km_kn_mn_v1r3ILi256EaiaLNS_25InMemoryDataOperationEnumE0ENS_16TensorDescriptorINS_5TupleIJNS_5EmbedINS4_IJiiEEENS4_IJNS_17integral_constantIiLi1EEEiEEELb0EEENS_7UnMergeINS4_IJiNS7_IiLi4EEEEEELb0EEENS_11PassThroughIiEEEEENS4_IJNS_8SequenceIJLi0EEEENSI_IJLi2EEEENSI_IJLi1EEEEEEENS4_IJNSI_IJLi1ELi2EEEENSI_IJLi3ELi4EEEENSI_IJLi5EEEEEEENSI_IJLi3ELi5ELi4EEEElEENS3_INS4_IJNS5_IS6_NS4_IJiS8_EEELb0EEESE_SG_EEENS4_IJSJ_SL_SK_EEESQ_SR_lEENS3_INS4_IJSU_SG_SG_EEESW_NS4_IJSN_NSI_IJLi3EEEENSI_IJLi4EEEEEEESO_lEELi128ELi128ELi16ELi4ELi4ELi4ELi1ENSI_IJLi8ELi2EEEES13_NSI_IJLi2ELi1ELi4ELi4EEEENSI_IJLi8ELi1ELi32ELi1EEEENSI_IJLi0ELi3ELi1ELi2EEEES16_NSI_IJLi1ELi1ELi4ELi1EEEES16_NSI_IJLi1ELi1ELi4ELi4EEEES14_S15_S16_S16_S17_S16_S18_NSI_IJLi0ELi1ELi2ELi3ELi4ELi5EEEELi5ELi4EEEaaNS3_INS4_IJSA_SE_SG_SG_NSB_INS4_IJiNS7_IiLi128EEEEEELb0EEENSF_ISC_EEEEENS4_IJSJ_SK_SL_SZ_SP_S10_EEENS4_IJSN_SO_SP_NSI_IJLi6EEEENSI_IJLi7ELi8EEEENSI_IJLi9EEEEEEENSI_IJLi6ELi7ELi8ELi9EEEElEENS3_INS4_IJSU_SE_SG_SG_S1D_S1E_EEENS4_IJSJ_SL_SK_SZ_SP_S10_EEES1K_S1L_lEENS3_INS4_IJSU_SG_SG_NSB_INS4_IJiNS7_IiLi2EEENS7_IiLi64EEEEEELb0EEES1T_EEENS4_IJSJ_SL_SK_SZ_S10_EEENS4_IJSN_SZ_S10_NSI_IJLi5ELi6ELi7EEEENSI_IJLi8ELi9ELi10EEEEEEENSI_IJLi5ELi6ELi7ELi8ELi9ELi10EEEElEENS_31BlockToCTileMap_M00_N00_M01_N01ILi128ELi128ES12_Lb0EEELb1ELb0EEEvPKT0_S25_PT1_T2_T3_T4_T5_: ; @_ZN2ck19kernel_gemm_dl_v1r3INS_28GridwiseGemmDl_km_kn_mn_v1r3ILi256EaiaLNS_25InMemoryDataOperationEnumE0ENS_16TensorDescriptorINS_5TupleIJNS_5EmbedINS4_IJiiEEENS4_IJNS_17integral_constantIiLi1EEEiEEELb0EEENS_7UnMergeINS4_IJiNS7_IiLi4EEEEEELb0EEENS_11PassThroughIiEEEEENS4_IJNS_8SequenceIJLi0EEEENSI_IJLi2EEEENSI_IJLi1EEEEEEENS4_IJNSI_IJLi1ELi2EEEENSI_IJLi3ELi4EEEENSI_IJLi5EEEEEEENSI_IJLi3ELi5ELi4EEEElEENS3_INS4_IJNS5_IS6_NS4_IJiS8_EEELb0EEESE_SG_EEENS4_IJSJ_SL_SK_EEESQ_SR_lEENS3_INS4_IJSU_SG_SG_EEESW_NS4_IJSN_NSI_IJLi3EEEENSI_IJLi4EEEEEEESO_lEELi128ELi128ELi16ELi4ELi4ELi4ELi1ENSI_IJLi8ELi2EEEES13_NSI_IJLi2ELi1ELi4ELi4EEEENSI_IJLi8ELi1ELi32ELi1EEEENSI_IJLi0ELi3ELi1ELi2EEEES16_NSI_IJLi1ELi1ELi4ELi1EEEES16_NSI_IJLi1ELi1ELi4ELi4EEEES14_S15_S16_S16_S17_S16_S18_NSI_IJLi0ELi1ELi2ELi3ELi4ELi5EEEELi5ELi4EEEaaNS3_INS4_IJSA_SE_SG_SG_NSB_INS4_IJiNS7_IiLi128EEEEEELb0EEENSF_ISC_EEEEENS4_IJSJ_SK_SL_SZ_SP_S10_EEENS4_IJSN_SO_SP_NSI_IJLi6EEEENSI_IJLi7ELi8EEEENSI_IJLi9EEEEEEENSI_IJLi6ELi7ELi8ELi9EEEElEENS3_INS4_IJSU_SE_SG_SG_S1D_S1E_EEENS4_IJSJ_SL_SK_SZ_SP_S10_EEES1K_S1L_lEENS3_INS4_IJSU_SG_SG_NSB_INS4_IJiNS7_IiLi2EEENS7_IiLi64EEEEEELb0EEES1T_EEENS4_IJSJ_SL_SK_SZ_S10_EEENS4_IJSN_SZ_S10_NSI_IJLi5ELi6ELi7EEEENSI_IJLi8ELi9ELi10EEEEEEENSI_IJLi5ELi6ELi7ELi8ELi9ELi10EEEElEENS_31BlockToCTileMap_M00_N00_M01_N01ILi128ELi128ES12_Lb0EEELb1ELb0EEEvPKT0_S25_PT1_T2_T3_T4_T5_
; %bb.0:
	s_add_u32 flat_scratch_lo, s6, s9
	s_addc_u32 flat_scratch_hi, s7, 0
	s_load_dwordx4 s[20:23], s[4:5], 0x0
	s_load_dwordx2 s[12:13], s[4:5], 0x10
	s_load_dwordx4 s[28:31], s[4:5], 0x11c
	s_load_dword s46, s[4:5], 0x24
	s_load_dword s43, s[4:5], 0x38
	;; [unrolled: 1-line block ×6, first 2 shown]
	s_load_dwordx2 s[14:15], s[4:5], 0xd0
	s_load_dword s7, s[4:5], 0xec
	s_load_dwordx4 s[36:39], s[4:5], 0x130
	s_load_dword s6, s[4:5], 0xfc
	s_load_dwordx4 s[24:27], s[4:5], 0x108
	s_add_u32 s0, s0, s9
	s_waitcnt lgkmcnt(0)
	s_mul_hi_u32 s4, s31, s8
	s_addc_u32 s1, s1, 0
	s_add_i32 s4, s8, s4
	s_lshr_b32 s4, s4, s39
	s_mul_hi_u32 s5, s4, s30
	s_add_i32 s5, s4, s5
	s_lshr_b32 s9, s5, s38
	s_mul_hi_u32 s11, s9, s29
	;; [unrolled: 3-line block ×3, first 2 shown]
	s_add_i32 s15, s11, s15
	s_lshr_b32 s15, s15, s36
	s_mul_i32 s15, s15, s24
	s_mul_i32 s5, s9, s26
	s_sub_i32 s15, s11, s15
	s_sub_i32 s5, s4, s5
	s_mul_i32 s15, s15, s7
	v_lshrrev_b32_e32 v1, 4, v0
	s_add_i32 s5, s5, s15
	v_and_b32_e32 v4, 14, v1
	v_lshlrev_b32_e32 v1, 2, v0
	v_and_b32_e32 v37, 0x7c, v1
	s_lshl_b32 s5, s5, 7
	v_or_b32_e32 v2, s5, v37
	v_lshlrev_b32_e32 v5, 2, v4
	v_mad_u64_u32 v[2:3], s[16:17], s46, v5, v[2:3]
	v_lshrrev_b32_e32 v3, 5, v0
	v_lshlrev_b32_e32 v0, 1, v0
	v_and_b32_e32 v7, 0x1f8, v0
	v_and_b32_e32 v0, 0x1fc, v0
	v_lshlrev_b32_e32 v6, 6, v3
	v_sub_u32_e32 v0, v0, v7
	v_sub_u32_e32 v6, v7, v6
	v_lshl_add_u32 v36, v3, 3, v0
	v_and_or_b32 v35, v1, 4, v6
	v_mov_b32_e32 v38, 0
	v_lshlrev_b32_e32 v0, 2, v36
	buffer_store_dword v38, off, s[0:3], 0 offset:64
	buffer_store_dword v36, off, s[0:3], 0 offset:68
	;; [unrolled: 1-line block ×12, first 2 shown]
	v_lshlrev_b32_e32 v0, 2, v35
	s_mov_b64 s[16:17], src_shared_base
	buffer_store_dword v0, off, s[0:3], 0 offset:112
	buffer_store_dword v38, off, s[0:3], 0 offset:116
	;; [unrolled: 1-line block ×72, first 2 shown]
	v_mov_b32_e32 v0, s17
	v_mov_b32_e32 v1, 0x4000
	buffer_store_dword v0, off, s[0:3], 0 offset:404
	buffer_store_dword v38, off, s[0:3], 0 offset:400
	buffer_store_byte v38, off, s[0:3], 0 offset:409
	buffer_store_dword v0, off, s[0:3], 0 offset:420
	buffer_store_dword v1, off, s[0:3], 0 offset:416
	buffer_store_byte v38, off, s[0:3], 0 offset:425
	buffer_store_dword v0, off, s[0:3], 0 offset:436
	v_mov_b32_e32 v1, 0x2000
	buffer_store_dword v1, off, s[0:3], 0 offset:432
	buffer_store_byte v38, off, s[0:3], 0 offset:441
	buffer_store_dword v0, off, s[0:3], 0 offset:452
	v_mov_b32_e32 v0, 0x6000
	buffer_store_dword v0, off, s[0:3], 0 offset:448
	buffer_store_byte v38, off, s[0:3], 0 offset:457
	s_mov_b32 s19, 0x20000
	s_mov_b32 s16, s20
	;; [unrolled: 1-line block ×3, first 2 shown]
	v_add_u32_e32 v1, s46, v2
	buffer_load_dword v3, v2, s[16:19], 0 offen
	buffer_load_dword v6, v1, s[16:19], 0 offen
	s_mul_i32 s11, s11, s25
	v_add_u32_e32 v0, s46, v1
	s_sub_i32 s7, s9, s11
	v_add_u32_e32 v7, s46, v0
	buffer_load_dword v8, v0, s[16:19], 0 offen
	buffer_load_dword v9, v7, s[16:19], 0 offen
	s_mul_i32 s7, s7, s6
	s_lshl_b32 s6, s46, 2
	s_mul_i32 s4, s4, s27
	v_add_u32_e32 v7, s6, v7
	s_sub_i32 s4, s8, s4
	v_add_u32_e32 v0, s6, v0
	buffer_load_dword v10, v7, s[16:19], 0 offen
	buffer_load_dword v11, v0, s[16:19], 0 offen
	s_add_i32 s4, s4, s7
	s_lshl_b32 s15, s4, 7
	v_add_u32_e32 v1, s6, v1
	v_or_b32_e32 v0, s15, v37
	v_add_u32_e32 v2, s6, v2
	buffer_load_dword v7, v1, s[16:19], 0 offen
	buffer_load_dword v12, v2, s[16:19], 0 offen
	v_mad_u64_u32 v[0:1], s[6:7], s45, v5, v[0:1]
	s_mov_b32 s8, s22
	s_mov_b32 s9, s23
	;; [unrolled: 1-line block ×3, first 2 shown]
	v_add_u32_e32 v1, s45, v0
	buffer_load_dword v13, v0, s[8:11], 0 offen
	buffer_load_dword v14, v1, s[8:11], 0 offen
	v_add_u32_e32 v2, s45, v1
	v_add_u32_e32 v15, s45, v2
	buffer_load_dword v16, v2, s[8:11], 0 offen
	buffer_load_dword v17, v15, s[8:11], 0 offen
	s_lshl_b32 s4, s45, 2
	v_add_u32_e32 v15, s4, v15
	v_add_u32_e32 v2, s4, v2
	buffer_load_dword v18, v15, s[8:11], 0 offen
	buffer_load_dword v19, v2, s[8:11], 0 offen
	v_add_u32_e32 v1, s4, v1
	v_add_u32_e32 v0, s4, v0
	buffer_load_dword v15, v1, s[8:11], 0 offen
	buffer_load_dword v20, v0, s[8:11], 0 offen
	s_movk_i32 s38, 0xff00
	v_lshlrev_b32_e32 v0, 2, v37
	s_movk_i32 s37, 0xff
	v_mov_b32_e32 v39, 8
	v_lshl_or_b32 v34, v4, 9, v0
	s_mov_b64 s[6:7], src_private_base
	s_mov_b32 s25, 64
	s_movk_i32 s6, 0x90
	s_mov_b32 s22, s7
	s_movk_i32 s26, 0x190
	;; [unrolled: 2-line block ×5, first 2 shown]
	s_mov_b32 s35, s7
	s_mov_b32 s36, 0
	;; [unrolled: 1-line block ×6, first 2 shown]
	s_sub_i32 s43, s43, 32
	s_lshl_b32 s44, s45, 7
	s_movk_i32 s32, 0x7800
	s_waitcnt vmcnt(15)
	v_and_b32_sdwa v0, v3, s37 dst_sel:DWORD dst_unused:UNUSED_PAD src0_sel:WORD_1 src1_sel:DWORD
	s_waitcnt vmcnt(14)
	v_and_b32_sdwa v1, v6, s38 dst_sel:DWORD dst_unused:UNUSED_PAD src0_sel:WORD_1 src1_sel:DWORD
	v_or_b32_sdwa v4, v3, v1 dst_sel:DWORD dst_unused:UNUSED_PAD src0_sel:BYTE_3 src1_sel:DWORD
	v_lshlrev_b16_sdwa v1, v39, v6 dst_sel:DWORD dst_unused:UNUSED_PAD src0_sel:DWORD src1_sel:WORD_1
	v_or_b32_e32 v2, v0, v1
	v_and_b32_e32 v0, 0xffffff00, v6
	v_or_b32_sdwa v1, v3, v0 dst_sel:DWORD dst_unused:UNUSED_PAD src0_sel:BYTE_1 src1_sel:DWORD
	s_waitcnt vmcnt(13)
	v_and_b32_sdwa v0, v8, s37 dst_sel:DWORD dst_unused:UNUSED_PAD src0_sel:WORD_1 src1_sel:DWORD
	s_waitcnt vmcnt(12)
	v_lshlrev_b16_sdwa v22, v39, v9 dst_sel:DWORD dst_unused:UNUSED_PAD src0_sel:DWORD src1_sel:WORD_1
	v_or_b32_sdwa v22, v0, v22 dst_sel:WORD_1 dst_unused:UNUSED_PAD src0_sel:DWORD src1_sel:DWORD
	v_and_b32_e32 v0, 0xffffff00, v9
	v_or_b32_sdwa v23, v8, v0 dst_sel:WORD_1 dst_unused:UNUSED_PAD src0_sel:BYTE_1 src1_sel:DWORD
	s_waitcnt vmcnt(11)
	v_and_b32_sdwa v0, v10, s38 dst_sel:DWORD dst_unused:UNUSED_PAD src0_sel:WORD_1 src1_sel:DWORD
	s_waitcnt vmcnt(10)
	v_or_b32_sdwa v24, v11, v0 dst_sel:WORD_1 dst_unused:UNUSED_PAD src0_sel:BYTE_3 src1_sel:DWORD
	v_lshlrev_b16_sdwa v0, v39, v10 dst_sel:DWORD dst_unused:UNUSED_PAD src0_sel:DWORD src1_sel:WORD_1
	v_and_b32_sdwa v25, v11, s37 dst_sel:DWORD dst_unused:UNUSED_PAD src0_sel:WORD_1 src1_sel:DWORD
	v_or_b32_sdwa v25, v25, v0 dst_sel:WORD_1 dst_unused:UNUSED_PAD src0_sel:DWORD src1_sel:DWORD
	v_and_b32_e32 v0, 0xffffff00, v10
	v_or_b32_sdwa v26, v11, v0 dst_sel:WORD_1 dst_unused:UNUSED_PAD src0_sel:BYTE_1 src1_sel:DWORD
	s_waitcnt vmcnt(9)
	v_and_b32_sdwa v0, v7, s38 dst_sel:DWORD dst_unused:UNUSED_PAD src0_sel:WORD_1 src1_sel:DWORD
	s_waitcnt vmcnt(8)
	v_or_b32_sdwa v27, v12, v0 dst_sel:DWORD dst_unused:UNUSED_PAD src0_sel:BYTE_3 src1_sel:DWORD
	v_lshlrev_b16_sdwa v0, v39, v7 dst_sel:DWORD dst_unused:UNUSED_PAD src0_sel:DWORD src1_sel:WORD_1
	v_and_b32_sdwa v28, v12, s37 dst_sel:DWORD dst_unused:UNUSED_PAD src0_sel:WORD_1 src1_sel:DWORD
	v_or_b32_e32 v28, v28, v0
	v_and_b32_e32 v0, 0xffffff00, v7
	v_or_b32_sdwa v29, v12, v0 dst_sel:DWORD dst_unused:UNUSED_PAD src0_sel:BYTE_1 src1_sel:DWORD
	s_waitcnt vmcnt(7)
	v_and_b32_sdwa v0, v13, s37 dst_sel:DWORD dst_unused:UNUSED_PAD src0_sel:WORD_1 src1_sel:DWORD
	s_waitcnt vmcnt(6)
	v_lshlrev_b16_sdwa v31, v39, v14 dst_sel:DWORD dst_unused:UNUSED_PAD src0_sel:DWORD src1_sel:WORD_1
	v_or_b32_e32 v31, v0, v31
	v_and_b32_e32 v0, 0xffffff00, v14
	v_or_b32_sdwa v32, v13, v0 dst_sel:DWORD dst_unused:UNUSED_PAD src0_sel:BYTE_1 src1_sel:DWORD
	s_waitcnt vmcnt(5)
	v_and_b32_sdwa v0, v16, s37 dst_sel:DWORD dst_unused:UNUSED_PAD src0_sel:WORD_1 src1_sel:DWORD
	s_waitcnt vmcnt(4)
	v_lshlrev_b16_sdwa v40, v39, v17 dst_sel:DWORD dst_unused:UNUSED_PAD src0_sel:DWORD src1_sel:WORD_1
	v_or_b32_sdwa v40, v0, v40 dst_sel:WORD_1 dst_unused:UNUSED_PAD src0_sel:DWORD src1_sel:DWORD
	v_and_b32_e32 v0, 0xffffff00, v17
	v_or_b32_sdwa v41, v16, v0 dst_sel:WORD_1 dst_unused:UNUSED_PAD src0_sel:BYTE_1 src1_sel:DWORD
	s_waitcnt vmcnt(3)
	v_and_b32_sdwa v0, v18, s38 dst_sel:DWORD dst_unused:UNUSED_PAD src0_sel:WORD_1 src1_sel:DWORD
	s_waitcnt vmcnt(2)
	v_or_b32_sdwa v42, v19, v0 dst_sel:WORD_1 dst_unused:UNUSED_PAD src0_sel:BYTE_3 src1_sel:DWORD
	v_lshlrev_b16_sdwa v0, v39, v18 dst_sel:DWORD dst_unused:UNUSED_PAD src0_sel:DWORD src1_sel:WORD_1
	v_and_b32_sdwa v43, v19, s37 dst_sel:DWORD dst_unused:UNUSED_PAD src0_sel:WORD_1 src1_sel:DWORD
	v_or_b32_sdwa v43, v43, v0 dst_sel:WORD_1 dst_unused:UNUSED_PAD src0_sel:DWORD src1_sel:DWORD
	v_and_b32_e32 v0, 0xffffff00, v18
	v_or_b32_sdwa v44, v19, v0 dst_sel:WORD_1 dst_unused:UNUSED_PAD src0_sel:BYTE_1 src1_sel:DWORD
	s_waitcnt vmcnt(1)
	v_and_b32_sdwa v0, v15, s38 dst_sel:DWORD dst_unused:UNUSED_PAD src0_sel:WORD_1 src1_sel:DWORD
	s_waitcnt vmcnt(0)
	v_or_b32_sdwa v45, v20, v0 dst_sel:DWORD dst_unused:UNUSED_PAD src0_sel:BYTE_3 src1_sel:DWORD
	v_lshlrev_b16_sdwa v0, v39, v15 dst_sel:DWORD dst_unused:UNUSED_PAD src0_sel:DWORD src1_sel:WORD_1
	v_and_b32_sdwa v46, v20, s37 dst_sel:DWORD dst_unused:UNUSED_PAD src0_sel:WORD_1 src1_sel:DWORD
	v_or_b32_e32 v46, v46, v0
	v_and_b32_e32 v0, 0xffffff00, v15
	v_or_b32_sdwa v47, v20, v0 dst_sel:DWORD dst_unused:UNUSED_PAD src0_sel:BYTE_1 src1_sel:DWORD
	v_lshlrev_b16_e32 v0, 8, v6
	v_and_b32_sdwa v21, v9, s38 dst_sel:DWORD dst_unused:UNUSED_PAD src0_sel:WORD_1 src1_sel:DWORD
	v_or_b32_sdwa v0, v3, v0 dst_sel:DWORD dst_unused:UNUSED_PAD src0_sel:BYTE_0 src1_sel:DWORD
	v_lshlrev_b16_e32 v3, 8, v9
	v_or_b32_sdwa v21, v8, v21 dst_sel:WORD_1 dst_unused:UNUSED_PAD src0_sel:BYTE_3 src1_sel:DWORD
	v_or_b32_sdwa v3, v8, v3 dst_sel:WORD_1 dst_unused:UNUSED_PAD src0_sel:BYTE_0 src1_sel:DWORD
	v_or_b32_sdwa v0, v0, v3 dst_sel:DWORD dst_unused:UNUSED_PAD src0_sel:WORD_0 src1_sel:DWORD
	v_or_b32_sdwa v1, v1, v23 dst_sel:DWORD dst_unused:UNUSED_PAD src0_sel:WORD_0 src1_sel:DWORD
	;; [unrolled: 1-line block ×4, first 2 shown]
	ds_write_b128 v34, v[0:3]
	v_lshlrev_b16_e32 v0, 8, v7
	v_lshlrev_b16_e32 v1, 8, v10
	v_or_b32_sdwa v0, v12, v0 dst_sel:DWORD dst_unused:UNUSED_PAD src0_sel:BYTE_0 src1_sel:DWORD
	v_or_b32_sdwa v1, v11, v1 dst_sel:WORD_1 dst_unused:UNUSED_PAD src0_sel:BYTE_0 src1_sel:DWORD
	v_or_b32_sdwa v0, v0, v1 dst_sel:DWORD dst_unused:UNUSED_PAD src0_sel:WORD_0 src1_sel:DWORD
	v_or_b32_sdwa v1, v29, v26 dst_sel:DWORD dst_unused:UNUSED_PAD src0_sel:WORD_0 src1_sel:DWORD
	;; [unrolled: 1-line block ×4, first 2 shown]
	v_and_b32_sdwa v30, v14, s38 dst_sel:DWORD dst_unused:UNUSED_PAD src0_sel:WORD_1 src1_sel:DWORD
	v_and_b32_sdwa v33, v17, s38 dst_sel:DWORD dst_unused:UNUSED_PAD src0_sel:WORD_1 src1_sel:DWORD
	ds_write_b128 v34, v[0:3] offset:512
	v_lshlrev_b16_e32 v0, 8, v14
	v_lshlrev_b16_e32 v1, 8, v17
	v_or_b32_sdwa v30, v13, v30 dst_sel:DWORD dst_unused:UNUSED_PAD src0_sel:BYTE_3 src1_sel:DWORD
	v_or_b32_sdwa v33, v16, v33 dst_sel:WORD_1 dst_unused:UNUSED_PAD src0_sel:BYTE_3 src1_sel:DWORD
	v_or_b32_sdwa v0, v13, v0 dst_sel:DWORD dst_unused:UNUSED_PAD src0_sel:BYTE_0 src1_sel:DWORD
	v_or_b32_sdwa v1, v16, v1 dst_sel:WORD_1 dst_unused:UNUSED_PAD src0_sel:BYTE_0 src1_sel:DWORD
	v_or_b32_sdwa v0, v0, v1 dst_sel:DWORD dst_unused:UNUSED_PAD src0_sel:WORD_0 src1_sel:DWORD
	v_or_b32_sdwa v1, v32, v41 dst_sel:DWORD dst_unused:UNUSED_PAD src0_sel:WORD_0 src1_sel:DWORD
	;; [unrolled: 1-line block ×4, first 2 shown]
	ds_write_b128 v34, v[0:3] offset:16384
	v_lshlrev_b16_e32 v0, 8, v15
	v_lshlrev_b16_e32 v1, 8, v18
	v_or_b32_sdwa v0, v20, v0 dst_sel:DWORD dst_unused:UNUSED_PAD src0_sel:BYTE_0 src1_sel:DWORD
	v_or_b32_sdwa v1, v19, v1 dst_sel:WORD_1 dst_unused:UNUSED_PAD src0_sel:BYTE_0 src1_sel:DWORD
	v_or_b32_sdwa v0, v0, v1 dst_sel:DWORD dst_unused:UNUSED_PAD src0_sel:WORD_0 src1_sel:DWORD
	v_or_b32_sdwa v1, v47, v44 dst_sel:DWORD dst_unused:UNUSED_PAD src0_sel:WORD_0 src1_sel:DWORD
	;; [unrolled: 1-line block ×4, first 2 shown]
	ds_write_b128 v34, v[0:3] offset:16896
	v_or_b32_e32 v0, 0x84, v5
	v_mul_lo_u32 v1, s45, v0
	v_add_u32_e32 v40, s15, v1
	v_or_b32_e32 v1, 0x85, v5
	v_mul_lo_u32 v2, s45, v1
	v_add_u32_e32 v41, s15, v2
	;; [unrolled: 3-line block ×7, first 2 shown]
	v_or_b32_e32 v8, 0x80, v5
	v_mul_lo_u32 v9, s45, v8
	v_mul_lo_u32 v0, s46, v0
	v_add_u32_e32 v47, s15, v9
	v_or_b32_e32 v9, 0x44, v5
	v_add_u32_e32 v56, s5, v0
	v_mul_lo_u32 v0, s46, v1
	v_mul_lo_u32 v10, s45, v9
	v_add_u32_e32 v57, s5, v0
	v_mul_lo_u32 v0, s46, v2
	v_add_u32_e32 v48, s15, v10
	v_or_b32_e32 v10, 0x45, v5
	v_add_u32_e32 v58, s5, v0
	v_mul_lo_u32 v0, s46, v3
	v_mul_lo_u32 v11, s45, v10
	v_add_u32_e32 v59, s5, v0
	;; [unrolled: 7-line block ×6, first 2 shown]
	v_mul_lo_u32 v0, s46, v13
	v_add_u32_e32 v53, s15, v15
	v_or_b32_e32 v15, 0x41, v5
	v_add_u32_e32 v68, s5, v0
	v_mul_lo_u32 v0, s46, v14
	v_mul_lo_u32 v16, s45, v15
	v_or_b32_e32 v5, 64, v5
	v_add_u32_e32 v69, s5, v0
	v_mul_lo_u32 v0, s46, v15
	v_add_u32_e32 v54, s15, v16
	v_mul_lo_u32 v16, s45, v5
	;; [unrolled: 2-line block ×3, first 2 shown]
	v_add_u32_e32 v55, s15, v16
	s_lshl_b32 s45, s46, 7
	v_add_u32_e32 v71, s5, v0
.LBB3_1:                                ; =>This Inner Loop Header: Depth=1
	v_add_u32_e32 v0, v37, v71
	v_add_u32_e32 v2, v37, v70
	;; [unrolled: 1-line block ×9, first 2 shown]
	buffer_load_dword v80, v0, s[16:19], 0 offen
	buffer_load_dword v82, v2, s[16:19], 0 offen
	;; [unrolled: 1-line block ×8, first 2 shown]
	v_add_u32_e32 v0, v37, v54
	v_add_u32_e32 v2, v37, v53
	;; [unrolled: 1-line block ×7, first 2 shown]
	buffer_load_dword v72, v1, s[8:11], 0 offen
	buffer_load_dword v86, v0, s[8:11], 0 offen
	;; [unrolled: 1-line block ×8, first 2 shown]
	s_waitcnt lgkmcnt(0)
	s_barrier
	buffer_load_dword v0, off, s[0:3], 0 offset:80
	buffer_load_dword v1, off, s[0:3], 0 offset:400
	;; [unrolled: 1-line block ×3, first 2 shown]
	s_nop 0
	buffer_store_dword v38, off, s[0:3], 0
	buffer_store_dword v38, off, s[0:3], 0 offset:4
	buffer_store_dword v38, off, s[0:3], 0 offset:8
	;; [unrolled: 1-line block ×15, first 2 shown]
	buffer_load_dword v4, off, s[0:3], 0 offset:112
	buffer_load_dword v5, off, s[0:3], 0 offset:416
	buffer_load_dword v6, off, s[0:3], 0 offset:420
	buffer_load_dword v16, off, s[0:3], 0 offset:148
	buffer_load_dword v17, off, s[0:3], 0 offset:152
	buffer_load_dword v18, off, s[0:3], 0 offset:156
	buffer_load_dword v19, off, s[0:3], 0 offset:144
	buffer_load_dword v20, off, s[0:3], 0 offset:180
	buffer_load_dword v21, off, s[0:3], 0 offset:184
	buffer_load_dword v22, off, s[0:3], 0 offset:160
	buffer_load_dword v23, off, s[0:3], 0 offset:164
	buffer_load_dword v24, off, s[0:3], 0 offset:168
	buffer_load_dword v25, off, s[0:3], 0 offset:172
	s_getpc_b64 s[20:21]
	s_add_u32 s20, s20, _ZNK2ck6detail15static_for_implINS_8SequenceIJLi1ELi2ELi3ELi4ELi5ELi6ELi7ELi8ELi9ELi10ELi11ELi12ELi13ELi14ELi15EEEEEclIZNKS_80BlockwiseGemmDl_A_BK0_BM_BK1_B_BK0_BN_BK1_C_BM0_BM1_BN0_BN1_pipeline_BM0_2_BN0_2ILi256EaaiKNS_16TensorDescriptorINS_5TupleIJNS_5EmbedINS8_IJNS_17integral_constantIiLi16EEENSA_IiLi128EEENSA_IiLi4EEEEEENS8_IJNSA_IiLi512EEESD_NSA_IiLi1EEEEEELb0EEEEEENS8_IJNS2_IJLi0EEEEEEENS8_IJNS2_IJLi1ELi2ELi3EEEEEEESM_NSA_IlLl8192EEEEESQ_Li4ELi4ELi1ENS2_IJLi8ELi2EEEESR_Li4ELi4ELb0EE3RunINS7_INS8_IJNS_7UnMergeINS8_IJNSA_IiLi2EEESD_SV_SD_EEELb0EEEEEESL_NS8_IJNS2_IJLi1ELi2ELi3ELi4EEEEEEESZ_NSA_IlLl64EEEEENS_13DynamicBufferILNS_16AddressSpaceEnumE2EaSO_Lb1ELNS_22AmdBufferCoherenceEnumE0EiEES16_NS_12StaticBufferILS14_4EiLi64ELb1EEEEEvRKT_RKT0_RKT1_RT2_EUlS19_E_EEvS19_@rel32@lo+4
	s_addc_u32 s21, s21, _ZNK2ck6detail15static_for_implINS_8SequenceIJLi1ELi2ELi3ELi4ELi5ELi6ELi7ELi8ELi9ELi10ELi11ELi12ELi13ELi14ELi15EEEEEclIZNKS_80BlockwiseGemmDl_A_BK0_BM_BK1_B_BK0_BN_BK1_C_BM0_BM1_BN0_BN1_pipeline_BM0_2_BN0_2ILi256EaaiKNS_16TensorDescriptorINS_5TupleIJNS_5EmbedINS8_IJNS_17integral_constantIiLi16EEENSA_IiLi128EEENSA_IiLi4EEEEEENS8_IJNSA_IiLi512EEESD_NSA_IiLi1EEEEEELb0EEEEEENS8_IJNS2_IJLi0EEEEEEENS8_IJNS2_IJLi1ELi2ELi3EEEEEEESM_NSA_IlLl8192EEEEESQ_Li4ELi4ELi1ENS2_IJLi8ELi2EEEESR_Li4ELi4ELb0EE3RunINS7_INS8_IJNS_7UnMergeINS8_IJNSA_IiLi2EEESD_SV_SD_EEELb0EEEEEESL_NS8_IJNS2_IJLi1ELi2ELi3ELi4EEEEEEESZ_NSA_IlLl64EEEEENS_13DynamicBufferILNS_16AddressSpaceEnumE2EaSO_Lb1ELNS_22AmdBufferCoherenceEnumE0EiEES16_NS_12StaticBufferILS14_4EiLi64ELb1EEEEEvRKT_RKT0_RKT1_RT2_EUlS19_E_EEvS19_@rel32@hi+12
	s_waitcnt vmcnt(0)
	v_and_b32_sdwa v14, v80, s37 dst_sel:DWORD dst_unused:UNUSED_PAD src0_sel:WORD_1 src1_sel:DWORD
	s_waitcnt vmcnt(46)
	v_and_b32_sdwa v15, v82, s38 dst_sel:DWORD dst_unused:UNUSED_PAD src0_sel:WORD_1 src1_sel:DWORD
	v_lshlrev_b16_sdwa v102, v39, v82 dst_sel:DWORD dst_unused:UNUSED_PAD src0_sel:DWORD src1_sel:WORD_1
	v_or_b32_sdwa v132, v80, v15 dst_sel:DWORD dst_unused:UNUSED_PAD src0_sel:BYTE_3 src1_sel:DWORD
	v_or_b32_e32 v102, v14, v102
	v_and_b32_e32 v103, 0xffffff00, v82
	s_waitcnt vmcnt(45)
	v_and_b32_sdwa v104, v81, s37 dst_sel:DWORD dst_unused:UNUSED_PAD src0_sel:WORD_1 src1_sel:DWORD
	s_waitcnt vmcnt(44)
	v_and_b32_sdwa v105, v83, s38 dst_sel:DWORD dst_unused:UNUSED_PAD src0_sel:WORD_1 src1_sel:DWORD
	s_waitcnt vmcnt(12)
	v_ashrrev_i32_e32 v7, 31, v4
	v_lshlrev_b16_sdwa v106, v39, v83 dst_sel:DWORD dst_unused:UNUSED_PAD src0_sel:DWORD src1_sel:WORD_1
	v_and_b32_e32 v107, 0xffffff00, v83
	v_and_b32_sdwa v108, v76, s38 dst_sel:DWORD dst_unused:UNUSED_PAD src0_sel:WORD_1 src1_sel:DWORD
	v_lshlrev_b16_sdwa v109, v39, v76 dst_sel:DWORD dst_unused:UNUSED_PAD src0_sel:DWORD src1_sel:WORD_1
	v_and_b32_sdwa v110, v77, s37 dst_sel:DWORD dst_unused:UNUSED_PAD src0_sel:WORD_1 src1_sel:DWORD
	v_and_b32_e32 v111, 0xffffff00, v76
	v_and_b32_sdwa v112, v78, s38 dst_sel:DWORD dst_unused:UNUSED_PAD src0_sel:WORD_1 src1_sel:DWORD
	v_ashrrev_i32_e32 v3, 31, v0
	v_add_co_u32_e32 v12, vcc, v1, v0
	v_addc_co_u32_e32 v13, vcc, v2, v3, vcc
	flat_load_dwordx4 v[0:3], v[12:13]
	s_waitcnt vmcnt(0)
	v_add_co_u32_e32 v8, vcc, v5, v4
	buffer_load_dword v26, off, s[0:3], 0 offset:212
	buffer_load_dword v27, off, s[0:3], 0 offset:192
	;; [unrolled: 1-line block ×6, first 2 shown]
	v_addc_co_u32_e32 v9, vcc, v6, v7, vcc
	v_lshlrev_b16_sdwa v113, v39, v78 dst_sel:DWORD dst_unused:UNUSED_PAD src0_sel:DWORD src1_sel:WORD_1
	v_and_b32_sdwa v114, v79, s37 dst_sel:DWORD dst_unused:UNUSED_PAD src0_sel:WORD_1 src1_sel:DWORD
	v_and_b32_e32 v115, 0xffffff00, v78
	v_and_b32_sdwa v116, v72, s37 dst_sel:DWORD dst_unused:UNUSED_PAD src0_sel:WORD_1 src1_sel:DWORD
	v_and_b32_sdwa v117, v86, s38 dst_sel:DWORD dst_unused:UNUSED_PAD src0_sel:WORD_1 src1_sel:DWORD
	v_lshlrev_b16_sdwa v118, v39, v86 dst_sel:DWORD dst_unused:UNUSED_PAD src0_sel:DWORD src1_sel:WORD_1
	v_and_b32_e32 v119, 0xffffff00, v86
	v_and_b32_sdwa v120, v73, s37 dst_sel:DWORD dst_unused:UNUSED_PAD src0_sel:WORD_1 src1_sel:DWORD
	v_and_b32_sdwa v121, v87, s38 dst_sel:DWORD dst_unused:UNUSED_PAD src0_sel:WORD_1 src1_sel:DWORD
	v_lshlrev_b16_sdwa v122, v39, v87 dst_sel:DWORD dst_unused:UNUSED_PAD src0_sel:DWORD src1_sel:WORD_1
	v_and_b32_e32 v123, 0xffffff00, v87
	v_and_b32_sdwa v124, v84, s38 dst_sel:DWORD dst_unused:UNUSED_PAD src0_sel:WORD_1 src1_sel:DWORD
	v_lshlrev_b16_sdwa v125, v39, v84 dst_sel:DWORD dst_unused:UNUSED_PAD src0_sel:DWORD src1_sel:WORD_1
	v_and_b32_sdwa v126, v74, s37 dst_sel:DWORD dst_unused:UNUSED_PAD src0_sel:WORD_1 src1_sel:DWORD
	v_and_b32_e32 v127, 0xffffff00, v84
	v_and_b32_sdwa v128, v85, s38 dst_sel:DWORD dst_unused:UNUSED_PAD src0_sel:WORD_1 src1_sel:DWORD
	v_lshlrev_b16_sdwa v129, v39, v85 dst_sel:DWORD dst_unused:UNUSED_PAD src0_sel:DWORD src1_sel:WORD_1
	v_and_b32_sdwa v130, v75, s37 dst_sel:DWORD dst_unused:UNUSED_PAD src0_sel:WORD_1 src1_sel:DWORD
	v_and_b32_e32 v131, 0xffffff00, v85
	v_or_b32_sdwa v103, v80, v103 dst_sel:DWORD dst_unused:UNUSED_PAD src0_sel:BYTE_1 src1_sel:DWORD
	v_or_b32_sdwa v105, v81, v105 dst_sel:WORD_1 dst_unused:UNUSED_PAD src0_sel:BYTE_3 src1_sel:DWORD
	v_or_b32_sdwa v104, v104, v106 dst_sel:WORD_1 dst_unused:UNUSED_PAD src0_sel:DWORD src1_sel:DWORD
	v_or_b32_sdwa v106, v81, v107 dst_sel:WORD_1 dst_unused:UNUSED_PAD src0_sel:BYTE_1 src1_sel:DWORD
	v_or_b32_sdwa v107, v77, v108 dst_sel:WORD_1 dst_unused:UNUSED_PAD src0_sel:BYTE_3 src1_sel:DWORD
	v_or_b32_sdwa v108, v110, v109 dst_sel:WORD_1 dst_unused:UNUSED_PAD src0_sel:DWORD src1_sel:DWORD
	v_or_b32_sdwa v109, v77, v111 dst_sel:WORD_1 dst_unused:UNUSED_PAD src0_sel:BYTE_1 src1_sel:DWORD
	v_or_b32_sdwa v110, v79, v112 dst_sel:DWORD dst_unused:UNUSED_PAD src0_sel:BYTE_3 src1_sel:DWORD
	v_or_b32_e32 v111, v114, v113
	v_or_b32_sdwa v112, v79, v115 dst_sel:DWORD dst_unused:UNUSED_PAD src0_sel:BYTE_1 src1_sel:DWORD
	v_or_b32_sdwa v113, v72, v117 dst_sel:DWORD dst_unused:UNUSED_PAD src0_sel:BYTE_3 src1_sel:DWORD
	v_or_b32_e32 v114, v116, v118
	v_or_b32_sdwa v115, v72, v119 dst_sel:DWORD dst_unused:UNUSED_PAD src0_sel:BYTE_1 src1_sel:DWORD
	v_or_b32_sdwa v116, v73, v121 dst_sel:WORD_1 dst_unused:UNUSED_PAD src0_sel:BYTE_3 src1_sel:DWORD
	v_or_b32_sdwa v117, v120, v122 dst_sel:WORD_1 dst_unused:UNUSED_PAD src0_sel:DWORD src1_sel:DWORD
	v_or_b32_sdwa v118, v73, v123 dst_sel:WORD_1 dst_unused:UNUSED_PAD src0_sel:BYTE_1 src1_sel:DWORD
	v_or_b32_sdwa v119, v74, v124 dst_sel:WORD_1 dst_unused:UNUSED_PAD src0_sel:BYTE_3 src1_sel:DWORD
	v_or_b32_sdwa v120, v126, v125 dst_sel:WORD_1 dst_unused:UNUSED_PAD src0_sel:DWORD src1_sel:DWORD
	v_or_b32_sdwa v121, v74, v127 dst_sel:WORD_1 dst_unused:UNUSED_PAD src0_sel:BYTE_1 src1_sel:DWORD
	v_or_b32_sdwa v122, v75, v128 dst_sel:DWORD dst_unused:UNUSED_PAD src0_sel:BYTE_3 src1_sel:DWORD
	v_or_b32_e32 v123, v130, v129
	v_or_b32_sdwa v124, v75, v131 dst_sel:DWORD dst_unused:UNUSED_PAD src0_sel:BYTE_1 src1_sel:DWORD
	s_waitcnt lgkmcnt(0)
	buffer_store_dword v0, off, s[0:3], 0
	buffer_store_dword v1, off, s[0:3], 0 offset:4
	buffer_store_dword v2, off, s[0:3], 0 offset:8
	;; [unrolled: 1-line block ×3, first 2 shown]
	flat_load_dwordx4 v[4:7], v[8:9]
	s_waitcnt vmcnt(0) lgkmcnt(0)
	buffer_store_dword v4, off, s[0:3], 0 offset:32
	buffer_store_dword v5, off, s[0:3], 0 offset:36
	;; [unrolled: 1-line block ×4, first 2 shown]
	flat_load_dwordx4 v[8:11], v[8:9] offset:256
	s_nop 0
	buffer_load_dword v32, off, s[0:3], 0 offset:176
	buffer_load_dword v33, off, s[0:3], 0 offset:208
	;; [unrolled: 1-line block ×16, first 2 shown]
	v_dot4c_i32_i8_e32 v19, v0, v4
	v_dot4c_i32_i8_e32 v16, v0, v5
	;; [unrolled: 1-line block ×8, first 2 shown]
	s_waitcnt vmcnt(0) lgkmcnt(0)
	buffer_store_dword v8, off, s[0:3], 0 offset:48
	buffer_store_dword v9, off, s[0:3], 0 offset:52
	;; [unrolled: 1-line block ×4, first 2 shown]
	flat_load_dwordx4 v[12:15], v[12:13] offset:256
	v_dot4c_i32_i8_e32 v32, v1, v4
	v_dot4c_i32_i8_e32 v33, v2, v4
	;; [unrolled: 1-line block ×24, first 2 shown]
	v_mov_b32_e32 v0, s25
	v_mov_b32_e32 v1, s7
	;; [unrolled: 1-line block ×12, first 2 shown]
	buffer_store_dword v19, off, s[0:3], 0 offset:144
	buffer_store_dword v16, off, s[0:3], 0 offset:148
	buffer_store_dword v17, off, s[0:3], 0 offset:152
	buffer_store_dword v18, off, s[0:3], 0 offset:156
	buffer_store_dword v32, off, s[0:3], 0 offset:176
	buffer_store_dword v20, off, s[0:3], 0 offset:180
	buffer_store_dword v21, off, s[0:3], 0 offset:184
	buffer_store_dword v31, off, s[0:3], 0 offset:188
	buffer_store_dword v33, off, s[0:3], 0 offset:208
	buffer_store_dword v26, off, s[0:3], 0 offset:212
	buffer_store_dword v89, off, s[0:3], 0 offset:216
	buffer_store_dword v90, off, s[0:3], 0 offset:220
	buffer_store_dword v94, off, s[0:3], 0 offset:240
	buffer_store_dword v88, off, s[0:3], 0 offset:244
	buffer_store_dword v96, off, s[0:3], 0 offset:248
	buffer_store_dword v97, off, s[0:3], 0 offset:252
	buffer_store_dword v22, off, s[0:3], 0 offset:160
	buffer_store_dword v23, off, s[0:3], 0 offset:164
	buffer_store_dword v24, off, s[0:3], 0 offset:168
	buffer_store_dword v25, off, s[0:3], 0 offset:172
	buffer_store_dword v27, off, s[0:3], 0 offset:192
	buffer_store_dword v28, off, s[0:3], 0 offset:196
	buffer_store_dword v29, off, s[0:3], 0 offset:200
	buffer_store_dword v30, off, s[0:3], 0 offset:204
	buffer_store_dword v91, off, s[0:3], 0 offset:224
	buffer_store_dword v92, off, s[0:3], 0 offset:228
	buffer_store_dword v93, off, s[0:3], 0 offset:232
	buffer_store_dword v95, off, s[0:3], 0 offset:236
	buffer_store_dword v98, off, s[0:3], 0 offset:256
	buffer_store_dword v99, off, s[0:3], 0 offset:260
	buffer_store_dword v100, off, s[0:3], 0 offset:264
	buffer_store_dword v101, off, s[0:3], 0 offset:268
	s_waitcnt vmcnt(0) lgkmcnt(0)
	buffer_store_dword v12, off, s[0:3], 0 offset:16
	buffer_store_dword v13, off, s[0:3], 0 offset:20
	buffer_store_dword v14, off, s[0:3], 0 offset:24
	buffer_store_dword v15, off, s[0:3], 0 offset:28
	s_swappc_b64 s[30:31], s[20:21]
	buffer_load_dword v0, off, s[0:3], 0 offset:32
	buffer_load_dword v1, off, s[0:3], 0 offset:36
	;; [unrolled: 1-line block ×46, first 2 shown]
	s_waitcnt vmcnt(39)
	v_dot4c_i32_i8_e32 v6, v4, v0
	s_waitcnt vmcnt(38)
	v_dot4c_i32_i8_e32 v7, v4, v1
	;; [unrolled: 2-line block ×14, first 2 shown]
	v_lshlrev_b16_e32 v0, 8, v82
	v_lshlrev_b16_e32 v1, 8, v83
	v_or_b32_sdwa v0, v80, v0 dst_sel:DWORD dst_unused:UNUSED_PAD src0_sel:BYTE_0 src1_sel:DWORD
	v_or_b32_sdwa v1, v81, v1 dst_sel:WORD_1 dst_unused:UNUSED_PAD src0_sel:BYTE_0 src1_sel:DWORD
	s_waitcnt vmcnt(23)
	v_dot4c_i32_i8_e32 v22, v19, v2
	s_waitcnt vmcnt(22)
	v_dot4c_i32_i8_e32 v23, v19, v3
	;; [unrolled: 2-line block ×18, first 2 shown]
	v_or_b32_sdwa v0, v0, v1 dst_sel:DWORD dst_unused:UNUSED_PAD src0_sel:WORD_0 src1_sel:DWORD
	s_waitcnt vmcnt(0)
	v_add_co_u32_e32 v4, vcc, v99, v34
	v_or_b32_sdwa v1, v103, v106 dst_sel:DWORD dst_unused:UNUSED_PAD src0_sel:WORD_0 src1_sel:DWORD
	v_or_b32_sdwa v2, v102, v104 dst_sel:DWORD dst_unused:UNUSED_PAD src0_sel:WORD_0 src1_sel:DWORD
	;; [unrolled: 1-line block ×3, first 2 shown]
	v_addc_co_u32_e32 v5, vcc, 0, v98, vcc
	buffer_store_dword v6, off, s[0:3], 0 offset:272
	buffer_store_dword v7, off, s[0:3], 0 offset:276
	;; [unrolled: 1-line block ×32, first 2 shown]
	flat_store_dwordx4 v[4:5], v[0:3]
	v_lshlrev_b16_e32 v8, 8, v85
	v_lshlrev_b16_e32 v0, 8, v78
	;; [unrolled: 1-line block ×3, first 2 shown]
	v_or_b32_sdwa v0, v79, v0 dst_sel:DWORD dst_unused:UNUSED_PAD src0_sel:BYTE_0 src1_sel:DWORD
	v_or_b32_sdwa v1, v77, v1 dst_sel:WORD_1 dst_unused:UNUSED_PAD src0_sel:BYTE_0 src1_sel:DWORD
	v_or_b32_sdwa v0, v0, v1 dst_sel:DWORD dst_unused:UNUSED_PAD src0_sel:WORD_0 src1_sel:DWORD
	v_or_b32_sdwa v1, v112, v109 dst_sel:DWORD dst_unused:UNUSED_PAD src0_sel:WORD_0 src1_sel:DWORD
	;; [unrolled: 1-line block ×4, first 2 shown]
	flat_store_dwordx4 v[4:5], v[0:3] offset:512
	buffer_load_dword v10, off, s[0:3], 0 offset:448
	buffer_load_dword v11, off, s[0:3], 0 offset:452
	v_lshlrev_b16_e32 v0, 8, v86
	v_lshlrev_b16_e32 v4, 8, v87
	;; [unrolled: 1-line block ×3, first 2 shown]
	v_or_b32_sdwa v0, v72, v0 dst_sel:DWORD dst_unused:UNUSED_PAD src0_sel:BYTE_0 src1_sel:DWORD
	v_or_b32_sdwa v4, v73, v4 dst_sel:WORD_1 dst_unused:UNUSED_PAD src0_sel:BYTE_0 src1_sel:DWORD
	v_or_b32_sdwa v8, v75, v8 dst_sel:DWORD dst_unused:UNUSED_PAD src0_sel:BYTE_0 src1_sel:DWORD
	v_or_b32_sdwa v9, v74, v9 dst_sel:WORD_1 dst_unused:UNUSED_PAD src0_sel:BYTE_0 src1_sel:DWORD
	v_or_b32_sdwa v0, v0, v4 dst_sel:DWORD dst_unused:UNUSED_PAD src0_sel:WORD_0 src1_sel:DWORD
	v_or_b32_sdwa v4, v8, v9 dst_sel:DWORD dst_unused:UNUSED_PAD src0_sel:WORD_0 src1_sel:DWORD
	;; [unrolled: 1-line block ×8, first 2 shown]
	v_add_u32_e32 v12, v37, v63
	v_add_u32_e32 v13, v37, v47
	;; [unrolled: 1-line block ×7, first 2 shown]
	s_waitcnt vmcnt(0)
	v_add_co_u32_e32 v8, vcc, v10, v34
	v_addc_co_u32_e32 v9, vcc, 0, v11, vcc
	flat_store_dwordx4 v[8:9], v[0:3]
	flat_store_dwordx4 v[8:9], v[4:7] offset:512
	v_add_u32_e32 v0, v37, v57
	v_add_u32_e32 v1, v37, v56
	buffer_load_dword v80, v12, s[16:19], 0 offen
	buffer_load_dword v82, v14, s[16:19], 0 offen
	;; [unrolled: 1-line block ×8, first 2 shown]
	v_add_u32_e32 v0, v37, v46
	v_add_u32_e32 v1, v37, v45
	;; [unrolled: 1-line block ×7, first 2 shown]
	buffer_load_dword v72, v13, s[8:11], 0 offen
	buffer_load_dword v86, v0, s[8:11], 0 offen
	;; [unrolled: 1-line block ×8, first 2 shown]
	s_waitcnt lgkmcnt(0)
	s_barrier
	buffer_load_dword v0, off, s[0:3], 0 offset:80
	s_nop 0
	buffer_store_dword v38, off, s[0:3], 0
	buffer_store_dword v38, off, s[0:3], 0 offset:4
	buffer_store_dword v38, off, s[0:3], 0 offset:8
	;; [unrolled: 1-line block ×15, first 2 shown]
	buffer_load_dword v4, off, s[0:3], 0 offset:112
	buffer_load_dword v16, off, s[0:3], 0 offset:160
	;; [unrolled: 1-line block ×5, first 2 shown]
	s_waitcnt vmcnt(0)
	v_and_b32_sdwa v14, v80, s37 dst_sel:DWORD dst_unused:UNUSED_PAD src0_sel:WORD_1 src1_sel:DWORD
	v_and_b32_sdwa v15, v82, s38 dst_sel:DWORD dst_unused:UNUSED_PAD src0_sel:WORD_1 src1_sel:DWORD
	v_lshlrev_b16_sdwa v102, v39, v82 dst_sel:DWORD dst_unused:UNUSED_PAD src0_sel:DWORD src1_sel:WORD_1
	v_or_b32_sdwa v132, v80, v15 dst_sel:DWORD dst_unused:UNUSED_PAD src0_sel:BYTE_3 src1_sel:DWORD
	v_or_b32_e32 v102, v14, v102
	v_and_b32_e32 v103, 0xffffff00, v82
	v_and_b32_sdwa v104, v81, s37 dst_sel:DWORD dst_unused:UNUSED_PAD src0_sel:WORD_1 src1_sel:DWORD
	v_and_b32_sdwa v105, v83, s38 dst_sel:DWORD dst_unused:UNUSED_PAD src0_sel:WORD_1 src1_sel:DWORD
	v_lshlrev_b16_sdwa v106, v39, v83 dst_sel:DWORD dst_unused:UNUSED_PAD src0_sel:DWORD src1_sel:WORD_1
	v_and_b32_e32 v107, 0xffffff00, v83
	v_and_b32_sdwa v108, v74, s38 dst_sel:DWORD dst_unused:UNUSED_PAD src0_sel:WORD_1 src1_sel:DWORD
	v_lshlrev_b16_sdwa v109, v39, v74 dst_sel:DWORD dst_unused:UNUSED_PAD src0_sel:DWORD src1_sel:WORD_1
	v_and_b32_sdwa v110, v75, s37 dst_sel:DWORD dst_unused:UNUSED_PAD src0_sel:WORD_1 src1_sel:DWORD
	v_and_b32_e32 v111, 0xffffff00, v74
	v_and_b32_sdwa v112, v78, s38 dst_sel:DWORD dst_unused:UNUSED_PAD src0_sel:WORD_1 src1_sel:DWORD
	v_lshlrev_b16_sdwa v113, v39, v78 dst_sel:DWORD dst_unused:UNUSED_PAD src0_sel:DWORD src1_sel:WORD_1
	v_ashrrev_i32_e32 v5, 31, v4
	v_and_b32_sdwa v114, v79, s37 dst_sel:DWORD dst_unused:UNUSED_PAD src0_sel:WORD_1 src1_sel:DWORD
	v_ashrrev_i32_e32 v1, 31, v0
	v_add_co_u32_e32 v12, vcc, v99, v0
	v_addc_co_u32_e32 v13, vcc, v98, v1, vcc
	flat_load_dwordx4 v[0:3], v[12:13]
	v_add_co_u32_e32 v8, vcc, v10, v4
	buffer_load_dword v20, off, s[0:3], 0 offset:192
	buffer_load_dword v21, off, s[0:3], 0 offset:196
	;; [unrolled: 1-line block ×3, first 2 shown]
	v_addc_co_u32_e32 v9, vcc, v11, v5, vcc
	v_and_b32_e32 v115, 0xffffff00, v78
	v_and_b32_sdwa v116, v72, s37 dst_sel:DWORD dst_unused:UNUSED_PAD src0_sel:WORD_1 src1_sel:DWORD
	v_and_b32_sdwa v117, v86, s38 dst_sel:DWORD dst_unused:UNUSED_PAD src0_sel:WORD_1 src1_sel:DWORD
	v_lshlrev_b16_sdwa v118, v39, v86 dst_sel:DWORD dst_unused:UNUSED_PAD src0_sel:DWORD src1_sel:WORD_1
	v_and_b32_e32 v119, 0xffffff00, v86
	v_and_b32_sdwa v120, v73, s37 dst_sel:DWORD dst_unused:UNUSED_PAD src0_sel:WORD_1 src1_sel:DWORD
	v_and_b32_sdwa v121, v87, s38 dst_sel:DWORD dst_unused:UNUSED_PAD src0_sel:WORD_1 src1_sel:DWORD
	v_lshlrev_b16_sdwa v122, v39, v87 dst_sel:DWORD dst_unused:UNUSED_PAD src0_sel:DWORD src1_sel:WORD_1
	v_and_b32_e32 v123, 0xffffff00, v87
	v_and_b32_sdwa v124, v84, s38 dst_sel:DWORD dst_unused:UNUSED_PAD src0_sel:WORD_1 src1_sel:DWORD
	v_lshlrev_b16_sdwa v125, v39, v84 dst_sel:DWORD dst_unused:UNUSED_PAD src0_sel:DWORD src1_sel:WORD_1
	v_and_b32_sdwa v126, v76, s37 dst_sel:DWORD dst_unused:UNUSED_PAD src0_sel:WORD_1 src1_sel:DWORD
	v_and_b32_e32 v127, 0xffffff00, v84
	v_and_b32_sdwa v128, v85, s38 dst_sel:DWORD dst_unused:UNUSED_PAD src0_sel:WORD_1 src1_sel:DWORD
	v_lshlrev_b16_sdwa v129, v39, v85 dst_sel:DWORD dst_unused:UNUSED_PAD src0_sel:DWORD src1_sel:WORD_1
	v_and_b32_sdwa v130, v77, s37 dst_sel:DWORD dst_unused:UNUSED_PAD src0_sel:WORD_1 src1_sel:DWORD
	v_and_b32_e32 v131, 0xffffff00, v85
	v_or_b32_sdwa v103, v80, v103 dst_sel:DWORD dst_unused:UNUSED_PAD src0_sel:BYTE_1 src1_sel:DWORD
	v_or_b32_sdwa v105, v81, v105 dst_sel:WORD_1 dst_unused:UNUSED_PAD src0_sel:BYTE_3 src1_sel:DWORD
	v_or_b32_sdwa v104, v104, v106 dst_sel:WORD_1 dst_unused:UNUSED_PAD src0_sel:DWORD src1_sel:DWORD
	v_or_b32_sdwa v106, v81, v107 dst_sel:WORD_1 dst_unused:UNUSED_PAD src0_sel:BYTE_1 src1_sel:DWORD
	v_or_b32_sdwa v107, v75, v108 dst_sel:WORD_1 dst_unused:UNUSED_PAD src0_sel:BYTE_3 src1_sel:DWORD
	v_or_b32_sdwa v108, v110, v109 dst_sel:WORD_1 dst_unused:UNUSED_PAD src0_sel:DWORD src1_sel:DWORD
	v_or_b32_sdwa v109, v75, v111 dst_sel:WORD_1 dst_unused:UNUSED_PAD src0_sel:BYTE_1 src1_sel:DWORD
	v_or_b32_sdwa v110, v79, v112 dst_sel:DWORD dst_unused:UNUSED_PAD src0_sel:BYTE_3 src1_sel:DWORD
	v_or_b32_e32 v111, v114, v113
	v_or_b32_sdwa v112, v79, v115 dst_sel:DWORD dst_unused:UNUSED_PAD src0_sel:BYTE_1 src1_sel:DWORD
	v_or_b32_sdwa v113, v72, v117 dst_sel:DWORD dst_unused:UNUSED_PAD src0_sel:BYTE_3 src1_sel:DWORD
	v_or_b32_e32 v114, v116, v118
	v_or_b32_sdwa v115, v72, v119 dst_sel:DWORD dst_unused:UNUSED_PAD src0_sel:BYTE_1 src1_sel:DWORD
	s_waitcnt vmcnt(0) lgkmcnt(0)
	buffer_store_dword v0, off, s[0:3], 0
	buffer_store_dword v1, off, s[0:3], 0 offset:4
	buffer_store_dword v2, off, s[0:3], 0 offset:8
	;; [unrolled: 1-line block ×3, first 2 shown]
	flat_load_dwordx4 v[4:7], v[8:9]
	v_or_b32_sdwa v116, v73, v121 dst_sel:WORD_1 dst_unused:UNUSED_PAD src0_sel:BYTE_3 src1_sel:DWORD
	v_or_b32_sdwa v117, v120, v122 dst_sel:WORD_1 dst_unused:UNUSED_PAD src0_sel:DWORD src1_sel:DWORD
	v_or_b32_sdwa v118, v73, v123 dst_sel:WORD_1 dst_unused:UNUSED_PAD src0_sel:BYTE_1 src1_sel:DWORD
	v_or_b32_sdwa v119, v76, v124 dst_sel:WORD_1 dst_unused:UNUSED_PAD src0_sel:BYTE_3 src1_sel:DWORD
	v_or_b32_sdwa v120, v126, v125 dst_sel:WORD_1 dst_unused:UNUSED_PAD src0_sel:DWORD src1_sel:DWORD
	v_or_b32_sdwa v121, v76, v127 dst_sel:WORD_1 dst_unused:UNUSED_PAD src0_sel:BYTE_1 src1_sel:DWORD
	v_or_b32_sdwa v122, v77, v128 dst_sel:DWORD dst_unused:UNUSED_PAD src0_sel:BYTE_3 src1_sel:DWORD
	v_or_b32_e32 v123, v130, v129
	v_or_b32_sdwa v124, v77, v131 dst_sel:DWORD dst_unused:UNUSED_PAD src0_sel:BYTE_1 src1_sel:DWORD
	s_waitcnt vmcnt(0) lgkmcnt(0)
	buffer_store_dword v4, off, s[0:3], 0 offset:32
	buffer_store_dword v5, off, s[0:3], 0 offset:36
	;; [unrolled: 1-line block ×4, first 2 shown]
	flat_load_dwordx4 v[8:11], v[8:9] offset:256
	s_nop 0
	buffer_load_dword v23, off, s[0:3], 0 offset:144
	buffer_load_dword v24, off, s[0:3], 0 offset:148
	;; [unrolled: 1-line block ×25, first 2 shown]
	v_dot4c_i32_i8_e32 v19, v0, v7
	v_dot4c_i32_i8_e32 v22, v1, v7
	s_waitcnt vmcnt(0) lgkmcnt(0)
	buffer_store_dword v8, off, s[0:3], 0 offset:48
	buffer_store_dword v9, off, s[0:3], 0 offset:52
	;; [unrolled: 1-line block ×4, first 2 shown]
	flat_load_dwordx4 v[12:15], v[12:13] offset:256
	v_dot4c_i32_i8_e32 v23, v0, v4
	v_dot4c_i32_i8_e32 v24, v0, v5
	;; [unrolled: 1-line block ×30, first 2 shown]
	v_mov_b32_e32 v0, s25
	v_mov_b32_e32 v1, s7
	;; [unrolled: 1-line block ×12, first 2 shown]
	buffer_store_dword v23, off, s[0:3], 0 offset:144
	buffer_store_dword v24, off, s[0:3], 0 offset:148
	;; [unrolled: 1-line block ×32, first 2 shown]
	s_waitcnt vmcnt(0) lgkmcnt(0)
	buffer_store_dword v12, off, s[0:3], 0 offset:16
	buffer_store_dword v13, off, s[0:3], 0 offset:20
	;; [unrolled: 1-line block ×4, first 2 shown]
	s_swappc_b64 s[30:31], s[20:21]
	buffer_load_dword v0, off, s[0:3], 0 offset:32
	buffer_load_dword v1, off, s[0:3], 0 offset:36
	;; [unrolled: 1-line block ×46, first 2 shown]
	s_add_i32 s36, s36, 32
	v_add_u32_e32 v40, s44, v40
	v_add_u32_e32 v41, s44, v41
	;; [unrolled: 1-line block ×31, first 2 shown]
	s_cmp_lt_i32 s36, s43
	v_add_u32_e32 v71, s45, v71
	s_waitcnt vmcnt(39)
	v_dot4c_i32_i8_e32 v6, v4, v0
	s_waitcnt vmcnt(38)
	v_dot4c_i32_i8_e32 v7, v4, v1
	;; [unrolled: 2-line block ×14, first 2 shown]
	v_lshlrev_b16_e32 v0, 8, v82
	v_lshlrev_b16_e32 v1, 8, v83
	v_or_b32_sdwa v0, v80, v0 dst_sel:DWORD dst_unused:UNUSED_PAD src0_sel:BYTE_0 src1_sel:DWORD
	v_or_b32_sdwa v1, v81, v1 dst_sel:WORD_1 dst_unused:UNUSED_PAD src0_sel:BYTE_0 src1_sel:DWORD
	s_waitcnt vmcnt(23)
	v_dot4c_i32_i8_e32 v22, v19, v2
	s_waitcnt vmcnt(22)
	v_dot4c_i32_i8_e32 v23, v19, v3
	;; [unrolled: 2-line block ×18, first 2 shown]
	v_or_b32_sdwa v0, v0, v1 dst_sel:DWORD dst_unused:UNUSED_PAD src0_sel:WORD_0 src1_sel:DWORD
	s_waitcnt vmcnt(0)
	v_add_co_u32_e32 v4, vcc, v99, v34
	v_or_b32_sdwa v1, v103, v106 dst_sel:DWORD dst_unused:UNUSED_PAD src0_sel:WORD_0 src1_sel:DWORD
	v_or_b32_sdwa v2, v102, v104 dst_sel:DWORD dst_unused:UNUSED_PAD src0_sel:WORD_0 src1_sel:DWORD
	;; [unrolled: 1-line block ×3, first 2 shown]
	v_addc_co_u32_e32 v5, vcc, 0, v98, vcc
	buffer_store_dword v6, off, s[0:3], 0 offset:272
	buffer_store_dword v7, off, s[0:3], 0 offset:276
	;; [unrolled: 1-line block ×32, first 2 shown]
	flat_store_dwordx4 v[4:5], v[0:3]
	v_lshlrev_b16_e32 v10, 8, v85
	v_lshlrev_b16_e32 v0, 8, v78
	;; [unrolled: 1-line block ×3, first 2 shown]
	v_or_b32_sdwa v0, v79, v0 dst_sel:DWORD dst_unused:UNUSED_PAD src0_sel:BYTE_0 src1_sel:DWORD
	v_or_b32_sdwa v1, v75, v1 dst_sel:WORD_1 dst_unused:UNUSED_PAD src0_sel:BYTE_0 src1_sel:DWORD
	v_or_b32_sdwa v0, v0, v1 dst_sel:DWORD dst_unused:UNUSED_PAD src0_sel:WORD_0 src1_sel:DWORD
	v_or_b32_sdwa v1, v112, v109 dst_sel:DWORD dst_unused:UNUSED_PAD src0_sel:WORD_0 src1_sel:DWORD
	;; [unrolled: 1-line block ×4, first 2 shown]
	flat_store_dwordx4 v[4:5], v[0:3] offset:512
	buffer_load_dword v8, off, s[0:3], 0 offset:416
	buffer_load_dword v9, off, s[0:3], 0 offset:420
	v_lshlrev_b16_e32 v0, 8, v86
	v_lshlrev_b16_e32 v4, 8, v87
	;; [unrolled: 1-line block ×3, first 2 shown]
	v_or_b32_sdwa v0, v72, v0 dst_sel:DWORD dst_unused:UNUSED_PAD src0_sel:BYTE_0 src1_sel:DWORD
	v_or_b32_sdwa v4, v73, v4 dst_sel:WORD_1 dst_unused:UNUSED_PAD src0_sel:BYTE_0 src1_sel:DWORD
	v_or_b32_sdwa v1, v115, v118 dst_sel:DWORD dst_unused:UNUSED_PAD src0_sel:WORD_0 src1_sel:DWORD
	v_or_b32_sdwa v2, v114, v117 dst_sel:DWORD dst_unused:UNUSED_PAD src0_sel:WORD_0 src1_sel:DWORD
	;; [unrolled: 1-line block ×3, first 2 shown]
	v_or_b32_sdwa v10, v77, v10 dst_sel:DWORD dst_unused:UNUSED_PAD src0_sel:BYTE_0 src1_sel:DWORD
	v_or_b32_sdwa v11, v76, v11 dst_sel:WORD_1 dst_unused:UNUSED_PAD src0_sel:BYTE_0 src1_sel:DWORD
	v_or_b32_sdwa v0, v0, v4 dst_sel:DWORD dst_unused:UNUSED_PAD src0_sel:WORD_0 src1_sel:DWORD
	v_or_b32_sdwa v5, v124, v121 dst_sel:DWORD dst_unused:UNUSED_PAD src0_sel:WORD_0 src1_sel:DWORD
	;; [unrolled: 1-line block ×5, first 2 shown]
	s_waitcnt vmcnt(0)
	v_add_co_u32_e32 v8, vcc, v8, v34
	v_addc_co_u32_e32 v9, vcc, 0, v9, vcc
	flat_store_dwordx4 v[8:9], v[0:3]
	flat_store_dwordx4 v[8:9], v[4:7] offset:512
	s_cbranch_scc1 .LBB3_1
; %bb.2:
	s_waitcnt lgkmcnt(0)
	s_barrier
	buffer_load_dword v0, off, s[0:3], 0 offset:80
	buffer_load_dword v1, off, s[0:3], 0 offset:400
	;; [unrolled: 1-line block ×3, first 2 shown]
	v_mov_b32_e32 v3, 0
	buffer_load_dword v4, off, s[0:3], 0 offset:112
	buffer_load_dword v5, off, s[0:3], 0 offset:416
	;; [unrolled: 1-line block ×13, first 2 shown]
	s_nop 0
	buffer_store_dword v3, off, s[0:3], 0
	buffer_store_dword v3, off, s[0:3], 0 offset:4
	buffer_store_dword v3, off, s[0:3], 0 offset:8
	;; [unrolled: 1-line block ×15, first 2 shown]
	s_mov_b64 s[8:9], src_private_base
	s_waitcnt vmcnt(0)
	v_ashrrev_i32_e32 v7, 31, v4
	v_ashrrev_i32_e32 v3, 31, v0
	v_add_co_u32_e32 v12, vcc, v1, v0
	v_addc_co_u32_e32 v13, vcc, v2, v3, vcc
	flat_load_dwordx4 v[0:3], v[12:13]
	v_add_co_u32_e32 v8, vcc, v5, v4
	buffer_load_dword v26, off, s[0:3], 0 offset:212
	buffer_load_dword v27, off, s[0:3], 0 offset:192
	;; [unrolled: 1-line block ×6, first 2 shown]
	v_addc_co_u32_e32 v9, vcc, v6, v7, vcc
	s_waitcnt vmcnt(0) lgkmcnt(0)
	buffer_store_dword v0, off, s[0:3], 0
	buffer_store_dword v1, off, s[0:3], 0 offset:4
	buffer_store_dword v2, off, s[0:3], 0 offset:8
	;; [unrolled: 1-line block ×3, first 2 shown]
	flat_load_dwordx4 v[4:7], v[8:9]
	s_waitcnt vmcnt(0) lgkmcnt(0)
	buffer_store_dword v4, off, s[0:3], 0 offset:32
	buffer_store_dword v5, off, s[0:3], 0 offset:36
	;; [unrolled: 1-line block ×4, first 2 shown]
	flat_load_dwordx4 v[8:11], v[8:9] offset:256
	s_nop 0
	buffer_load_dword v32, off, s[0:3], 0 offset:176
	buffer_load_dword v33, off, s[0:3], 0 offset:208
	buffer_load_dword v34, off, s[0:3], 0 offset:216
	buffer_load_dword v37, off, s[0:3], 0 offset:220
	buffer_load_dword v38, off, s[0:3], 0 offset:240
	buffer_load_dword v39, off, s[0:3], 0 offset:244
	buffer_load_dword v40, off, s[0:3], 0 offset:248
	buffer_load_dword v41, off, s[0:3], 0 offset:252
	buffer_load_dword v42, off, s[0:3], 0 offset:224
	buffer_load_dword v43, off, s[0:3], 0 offset:228
	buffer_load_dword v44, off, s[0:3], 0 offset:232
	buffer_load_dword v45, off, s[0:3], 0 offset:236
	buffer_load_dword v46, off, s[0:3], 0 offset:256
	buffer_load_dword v47, off, s[0:3], 0 offset:260
	buffer_load_dword v48, off, s[0:3], 0 offset:264
	buffer_load_dword v49, off, s[0:3], 0 offset:268
	v_dot4c_i32_i8_e32 v19, v0, v4
	v_dot4c_i32_i8_e32 v16, v0, v5
	;; [unrolled: 1-line block ×8, first 2 shown]
	s_waitcnt vmcnt(0) lgkmcnt(0)
	buffer_store_dword v8, off, s[0:3], 0 offset:48
	buffer_store_dword v9, off, s[0:3], 0 offset:52
	buffer_store_dword v10, off, s[0:3], 0 offset:56
	buffer_store_dword v11, off, s[0:3], 0 offset:60
	flat_load_dwordx4 v[12:15], v[12:13] offset:256
	v_dot4c_i32_i8_e32 v32, v1, v4
	v_dot4c_i32_i8_e32 v33, v2, v4
	;; [unrolled: 1-line block ×24, first 2 shown]
	v_mov_b32_e32 v0, s25
	v_mov_b32_e32 v1, s7
	;; [unrolled: 1-line block ×12, first 2 shown]
	buffer_store_dword v19, off, s[0:3], 0 offset:144
	buffer_store_dword v16, off, s[0:3], 0 offset:148
	;; [unrolled: 1-line block ×32, first 2 shown]
	s_waitcnt vmcnt(0) lgkmcnt(0)
	buffer_store_dword v12, off, s[0:3], 0 offset:16
	buffer_store_dword v13, off, s[0:3], 0 offset:20
	;; [unrolled: 1-line block ×4, first 2 shown]
	s_swappc_b64 s[30:31], s[20:21]
	buffer_load_dword v0, off, s[0:3], 0 offset:32
	buffer_load_dword v1, off, s[0:3], 0 offset:36
	;; [unrolled: 1-line block ×48, first 2 shown]
	s_mov_b32 s4, 0xc0c0500
	s_waitcnt vmcnt(41)
	v_dot4c_i32_i8_e32 v6, v4, v0
	s_waitcnt vmcnt(40)
	v_dot4c_i32_i8_e32 v7, v4, v1
	;; [unrolled: 2-line block ×13, first 2 shown]
	v_dot4c_i32_i8_e32 v20, v24, v1
	v_dot4c_i32_i8_e32 v21, v24, v2
	v_add_u32_e32 v0, s5, v36
	v_dot4c_i32_i8_e32 v22, v24, v3
	v_mul_lo_u32 v0, v0, s33
	s_waitcnt vmcnt(18)
	v_dot4c_i32_i8_e32 v29, v4, v26
	s_waitcnt vmcnt(17)
	v_dot4c_i32_i8_e32 v30, v4, v25
	;; [unrolled: 2-line block ×14, first 2 shown]
	s_waitcnt vmcnt(3)
	v_lshlrev_b32_e32 v3, 24, v46
	s_waitcnt vmcnt(2)
	v_lshlrev_b32_e32 v2, 16, v47
	;; [unrolled: 2-line block ×3, first 2 shown]
	v_and_b32_e32 v2, 0xff0000, v2
	s_waitcnt vmcnt(0)
	v_perm_b32 v1, v1, v49, s4
	v_dot4c_i32_i8_e32 v45, v24, v23
	v_add3_u32 v0, s15, v35, v0
	v_or3_b32 v1, v1, v2, v3
	s_mov_b32 s15, 0x20000
	v_dot4c_i32_i8_e32 v28, v4, v27
	buffer_store_dword v6, off, s[0:3], 0 offset:272
	buffer_store_dword v7, off, s[0:3], 0 offset:276
	;; [unrolled: 1-line block ×32, first 2 shown]
	buffer_store_dword v1, v0, s[12:15], 0 offen
	buffer_load_dword v1, off, s[0:3], 0 offset:164
	s_nop 0
	buffer_load_dword v2, off, s[0:3], 0 offset:168
	buffer_load_dword v3, off, s[0:3], 0 offset:172
	;; [unrolled: 1-line block ×3, first 2 shown]
	s_lshl_b32 s5, s33, 6
	s_waitcnt vmcnt(3)
	v_lshlrev_b32_e32 v1, 8, v1
	s_waitcnt vmcnt(2)
	v_lshlrev_b32_e32 v2, 16, v2
	;; [unrolled: 2-line block ×3, first 2 shown]
	v_and_b32_e32 v2, 0xff0000, v2
	s_waitcnt vmcnt(0)
	v_perm_b32 v1, v1, v4, s4
	v_or3_b32 v1, v1, v2, v3
	buffer_store_dword v1, v0, s[12:15], 0 offen offset:64
	buffer_load_dword v1, off, s[0:3], 0 offset:196
	s_nop 0
	buffer_load_dword v2, off, s[0:3], 0 offset:200
	buffer_load_dword v3, off, s[0:3], 0 offset:204
	;; [unrolled: 1-line block ×3, first 2 shown]
	v_add_u32_e32 v0, s33, v0
	v_add_u32_e32 v5, 64, v0
	s_waitcnt vmcnt(3)
	v_lshlrev_b32_e32 v1, 8, v1
	s_waitcnt vmcnt(2)
	v_lshlrev_b32_e32 v2, 16, v2
	;; [unrolled: 2-line block ×3, first 2 shown]
	v_and_b32_e32 v2, 0xff0000, v2
	s_waitcnt vmcnt(0)
	v_perm_b32 v1, v1, v4, s4
	v_or3_b32 v1, v1, v2, v3
	buffer_store_dword v1, v5, s[12:15], 0 offen
	buffer_load_dword v1, off, s[0:3], 0 offset:180
	s_nop 0
	buffer_load_dword v2, off, s[0:3], 0 offset:184
	buffer_load_dword v3, off, s[0:3], 0 offset:188
	buffer_load_dword v4, off, s[0:3], 0 offset:176
	s_waitcnt vmcnt(3)
	v_lshlrev_b32_e32 v1, 8, v1
	s_waitcnt vmcnt(2)
	v_lshlrev_b32_e32 v2, 16, v2
	;; [unrolled: 2-line block ×3, first 2 shown]
	v_and_b32_e32 v2, 0xff0000, v2
	s_waitcnt vmcnt(0)
	v_perm_b32 v1, v1, v4, s4
	v_or3_b32 v1, v1, v2, v3
	buffer_store_dword v1, v0, s[12:15], 0 offen
	buffer_load_dword v1, off, s[0:3], 0 offset:212
	s_nop 0
	buffer_load_dword v2, off, s[0:3], 0 offset:216
	buffer_load_dword v3, off, s[0:3], 0 offset:220
	;; [unrolled: 1-line block ×3, first 2 shown]
	v_add_u32_e32 v0, s33, v0
	v_add_u32_e32 v5, 64, v0
	;; [unrolled: 1-line block ×3, first 2 shown]
	s_waitcnt vmcnt(3)
	v_lshlrev_b32_e32 v1, 8, v1
	s_waitcnt vmcnt(2)
	v_lshlrev_b32_e32 v2, 16, v2
	;; [unrolled: 2-line block ×3, first 2 shown]
	v_and_b32_e32 v2, 0xff0000, v2
	s_waitcnt vmcnt(0)
	v_perm_b32 v1, v1, v4, s4
	v_or3_b32 v1, v1, v2, v3
	buffer_store_dword v1, v0, s[12:15], 0 offen
	buffer_load_dword v1, off, s[0:3], 0 offset:228
	s_nop 0
	buffer_load_dword v2, off, s[0:3], 0 offset:232
	buffer_load_dword v3, off, s[0:3], 0 offset:236
	;; [unrolled: 1-line block ×3, first 2 shown]
	s_waitcnt vmcnt(3)
	v_lshlrev_b32_e32 v1, 8, v1
	s_waitcnt vmcnt(2)
	v_lshlrev_b32_e32 v2, 16, v2
	;; [unrolled: 2-line block ×3, first 2 shown]
	v_and_b32_e32 v2, 0xff0000, v2
	s_waitcnt vmcnt(0)
	v_perm_b32 v1, v1, v4, s4
	v_or3_b32 v1, v1, v2, v3
	buffer_store_dword v1, v0, s[12:15], 0 offen offset:64
	buffer_load_dword v1, off, s[0:3], 0 offset:260
	s_nop 0
	buffer_load_dword v2, off, s[0:3], 0 offset:264
	buffer_load_dword v3, off, s[0:3], 0 offset:268
	;; [unrolled: 1-line block ×3, first 2 shown]
	v_add_u32_e32 v0, s33, v0
	s_waitcnt vmcnt(3)
	v_lshlrev_b32_e32 v1, 8, v1
	s_waitcnt vmcnt(2)
	v_lshlrev_b32_e32 v2, 16, v2
	;; [unrolled: 2-line block ×3, first 2 shown]
	v_and_b32_e32 v2, 0xff0000, v2
	s_waitcnt vmcnt(0)
	v_perm_b32 v1, v1, v4, s4
	v_or3_b32 v1, v1, v2, v3
	buffer_store_dword v1, v6, s[12:15], 0 offen
	buffer_load_dword v1, off, s[0:3], 0 offset:244
	s_nop 0
	buffer_load_dword v2, off, s[0:3], 0 offset:248
	buffer_load_dword v3, off, s[0:3], 0 offset:252
	buffer_load_dword v4, off, s[0:3], 0 offset:240
	s_waitcnt vmcnt(3)
	v_lshlrev_b32_e32 v1, 8, v1
	s_waitcnt vmcnt(2)
	v_lshlrev_b32_e32 v2, 16, v2
	;; [unrolled: 2-line block ×3, first 2 shown]
	v_and_b32_e32 v2, 0xff0000, v2
	s_waitcnt vmcnt(0)
	v_perm_b32 v1, v1, v4, s4
	v_or3_b32 v1, v1, v2, v3
	buffer_store_dword v1, v0, s[12:15], 0 offen
	buffer_load_dword v1, off, s[0:3], 0 offset:372
	s_nop 0
	buffer_load_dword v2, off, s[0:3], 0 offset:376
	buffer_load_dword v3, off, s[0:3], 0 offset:380
	;; [unrolled: 1-line block ×3, first 2 shown]
	v_add_u32_e32 v0, s5, v0
	s_waitcnt vmcnt(3)
	v_lshlrev_b32_e32 v1, 8, v1
	s_waitcnt vmcnt(2)
	v_lshlrev_b32_e32 v2, 16, v2
	;; [unrolled: 2-line block ×3, first 2 shown]
	v_and_b32_e32 v2, 0xff0000, v2
	s_waitcnt vmcnt(0)
	v_perm_b32 v1, v1, v4, s4
	v_or3_b32 v1, v1, v2, v3
	buffer_store_dword v1, v0, s[12:15], 0 offen
	buffer_load_dword v1, off, s[0:3], 0 offset:388
	s_nop 0
	buffer_load_dword v2, off, s[0:3], 0 offset:392
	buffer_load_dword v3, off, s[0:3], 0 offset:396
	;; [unrolled: 1-line block ×3, first 2 shown]
	s_waitcnt vmcnt(3)
	v_lshlrev_b32_e32 v1, 8, v1
	s_waitcnt vmcnt(2)
	v_lshlrev_b32_e32 v2, 16, v2
	;; [unrolled: 2-line block ×3, first 2 shown]
	v_and_b32_e32 v2, 0xff0000, v2
	s_waitcnt vmcnt(0)
	v_perm_b32 v1, v1, v4, s4
	v_or3_b32 v1, v1, v2, v3
	buffer_store_dword v1, v0, s[12:15], 0 offen offset:64
	buffer_load_dword v0, off, s[0:3], 0 offset:356
	s_nop 0
	buffer_load_dword v1, off, s[0:3], 0 offset:360
	buffer_load_dword v2, off, s[0:3], 0 offset:364
	;; [unrolled: 1-line block ×3, first 2 shown]
	v_add_u32_e32 v4, s5, v5
	s_waitcnt vmcnt(3)
	v_lshlrev_b32_e32 v0, 8, v0
	s_waitcnt vmcnt(2)
	v_lshlrev_b32_e32 v1, 16, v1
	;; [unrolled: 2-line block ×3, first 2 shown]
	v_and_b32_e32 v1, 0xff0000, v1
	s_waitcnt vmcnt(0)
	v_perm_b32 v0, v0, v3, s4
	v_or3_b32 v0, v0, v1, v2
	buffer_store_dword v0, v4, s[12:15], 0 offen
	buffer_load_dword v0, off, s[0:3], 0 offset:340
	s_nop 0
	buffer_load_dword v1, off, s[0:3], 0 offset:344
	buffer_load_dword v2, off, s[0:3], 0 offset:348
	;; [unrolled: 1-line block ×3, first 2 shown]
	v_subrev_u32_e32 v4, 64, v4
	s_waitcnt vmcnt(3)
	v_lshlrev_b32_e32 v0, 8, v0
	s_waitcnt vmcnt(2)
	v_lshlrev_b32_e32 v1, 16, v1
	;; [unrolled: 2-line block ×3, first 2 shown]
	v_and_b32_e32 v1, 0xff0000, v1
	s_waitcnt vmcnt(0)
	v_perm_b32 v0, v0, v3, s4
	v_or3_b32 v0, v0, v1, v2
	buffer_store_dword v0, v4, s[12:15], 0 offen
	buffer_load_dword v0, off, s[0:3], 0 offset:308
	s_nop 0
	buffer_load_dword v1, off, s[0:3], 0 offset:312
	buffer_load_dword v2, off, s[0:3], 0 offset:316
	;; [unrolled: 1-line block ×3, first 2 shown]
	v_subrev_u32_e32 v4, s33, v4
	s_waitcnt vmcnt(3)
	v_lshlrev_b32_e32 v0, 8, v0
	s_waitcnt vmcnt(2)
	v_lshlrev_b32_e32 v1, 16, v1
	;; [unrolled: 2-line block ×3, first 2 shown]
	v_and_b32_e32 v1, 0xff0000, v1
	s_waitcnt vmcnt(0)
	v_perm_b32 v0, v0, v3, s4
	v_or3_b32 v0, v0, v1, v2
	buffer_store_dword v0, v4, s[12:15], 0 offen
	buffer_load_dword v0, off, s[0:3], 0 offset:324
	s_nop 0
	buffer_load_dword v1, off, s[0:3], 0 offset:328
	buffer_load_dword v2, off, s[0:3], 0 offset:332
	;; [unrolled: 1-line block ×3, first 2 shown]
	s_waitcnt vmcnt(3)
	v_lshlrev_b32_e32 v0, 8, v0
	s_waitcnt vmcnt(2)
	v_lshlrev_b32_e32 v1, 16, v1
	;; [unrolled: 2-line block ×3, first 2 shown]
	v_and_b32_e32 v1, 0xff0000, v1
	s_waitcnt vmcnt(0)
	v_perm_b32 v0, v0, v3, s4
	v_or3_b32 v0, v0, v1, v2
	buffer_store_dword v0, v4, s[12:15], 0 offen offset:64
	buffer_load_dword v0, off, s[0:3], 0 offset:292
	s_nop 0
	buffer_load_dword v1, off, s[0:3], 0 offset:296
	buffer_load_dword v2, off, s[0:3], 0 offset:300
	;; [unrolled: 1-line block ×3, first 2 shown]
	v_subrev_u32_e32 v4, s33, v4
	v_add_u32_e32 v5, 64, v4
	s_waitcnt vmcnt(3)
	v_lshlrev_b32_e32 v0, 8, v0
	s_waitcnt vmcnt(2)
	v_lshlrev_b32_e32 v1, 16, v1
	;; [unrolled: 2-line block ×3, first 2 shown]
	v_and_b32_e32 v1, 0xff0000, v1
	s_waitcnt vmcnt(0)
	v_perm_b32 v0, v0, v3, s4
	v_or3_b32 v0, v0, v1, v2
	buffer_store_dword v0, v5, s[12:15], 0 offen
	buffer_load_dword v0, off, s[0:3], 0 offset:276
	s_nop 0
	buffer_load_dword v1, off, s[0:3], 0 offset:280
	buffer_load_dword v2, off, s[0:3], 0 offset:272
	;; [unrolled: 1-line block ×3, first 2 shown]
	s_waitcnt vmcnt(3)
	v_lshlrev_b32_e32 v0, 8, v0
	s_waitcnt vmcnt(2)
	v_lshlrev_b32_e32 v1, 16, v1
	v_and_b32_e32 v1, 0xff0000, v1
	s_waitcnt vmcnt(1)
	v_perm_b32 v0, v0, v2, s4
	s_waitcnt vmcnt(0)
	v_lshlrev_b32_e32 v2, 24, v3
	v_or3_b32 v0, v0, v1, v2
	buffer_store_dword v0, v4, s[12:15], 0 offen
	s_endpgm
	.section	.rodata,"a",@progbits
	.p2align	6, 0x0
	.amdhsa_kernel _ZN2ck19kernel_gemm_dl_v1r3INS_28GridwiseGemmDl_km_kn_mn_v1r3ILi256EaiaLNS_25InMemoryDataOperationEnumE0ENS_16TensorDescriptorINS_5TupleIJNS_5EmbedINS4_IJiiEEENS4_IJNS_17integral_constantIiLi1EEEiEEELb0EEENS_7UnMergeINS4_IJiNS7_IiLi4EEEEEELb0EEENS_11PassThroughIiEEEEENS4_IJNS_8SequenceIJLi0EEEENSI_IJLi2EEEENSI_IJLi1EEEEEEENS4_IJNSI_IJLi1ELi2EEEENSI_IJLi3ELi4EEEENSI_IJLi5EEEEEEENSI_IJLi3ELi5ELi4EEEElEENS3_INS4_IJNS5_IS6_NS4_IJiS8_EEELb0EEESE_SG_EEENS4_IJSJ_SL_SK_EEESQ_SR_lEENS3_INS4_IJSU_SG_SG_EEESW_NS4_IJSN_NSI_IJLi3EEEENSI_IJLi4EEEEEEESO_lEELi128ELi128ELi16ELi4ELi4ELi4ELi1ENSI_IJLi8ELi2EEEES13_NSI_IJLi2ELi1ELi4ELi4EEEENSI_IJLi8ELi1ELi32ELi1EEEENSI_IJLi0ELi3ELi1ELi2EEEES16_NSI_IJLi1ELi1ELi4ELi1EEEES16_NSI_IJLi1ELi1ELi4ELi4EEEES14_S15_S16_S16_S17_S16_S18_NSI_IJLi0ELi1ELi2ELi3ELi4ELi5EEEELi5ELi4EEEaaNS3_INS4_IJSA_SE_SG_SG_NSB_INS4_IJiNS7_IiLi128EEEEEELb0EEENSF_ISC_EEEEENS4_IJSJ_SK_SL_SZ_SP_S10_EEENS4_IJSN_SO_SP_NSI_IJLi6EEEENSI_IJLi7ELi8EEEENSI_IJLi9EEEEEEENSI_IJLi6ELi7ELi8ELi9EEEElEENS3_INS4_IJSU_SE_SG_SG_S1D_S1E_EEENS4_IJSJ_SL_SK_SZ_SP_S10_EEES1K_S1L_lEENS3_INS4_IJSU_SG_SG_NSB_INS4_IJiNS7_IiLi2EEENS7_IiLi64EEEEEELb0EEES1T_EEENS4_IJSJ_SL_SK_SZ_S10_EEENS4_IJSN_SZ_S10_NSI_IJLi5ELi6ELi7EEEENSI_IJLi8ELi9ELi10EEEEEEENSI_IJLi5ELi6ELi7ELi8ELi9ELi10EEEElEENS_31BlockToCTileMap_M00_N00_M01_N01ILi128ELi128ES12_Lb0EEELb1ELb0EEEvPKT0_S25_PT1_T2_T3_T4_T5_
		.amdhsa_group_segment_fixed_size 32768
		.amdhsa_private_segment_fixed_size 480
		.amdhsa_kernarg_size 328
		.amdhsa_user_sgpr_count 8
		.amdhsa_user_sgpr_private_segment_buffer 1
		.amdhsa_user_sgpr_dispatch_ptr 0
		.amdhsa_user_sgpr_queue_ptr 0
		.amdhsa_user_sgpr_kernarg_segment_ptr 1
		.amdhsa_user_sgpr_dispatch_id 0
		.amdhsa_user_sgpr_flat_scratch_init 1
		.amdhsa_user_sgpr_kernarg_preload_length 0
		.amdhsa_user_sgpr_kernarg_preload_offset 0
		.amdhsa_user_sgpr_private_segment_size 0
		.amdhsa_uses_dynamic_stack 0
		.amdhsa_system_sgpr_private_segment_wavefront_offset 1
		.amdhsa_system_sgpr_workgroup_id_x 1
		.amdhsa_system_sgpr_workgroup_id_y 0
		.amdhsa_system_sgpr_workgroup_id_z 0
		.amdhsa_system_sgpr_workgroup_info 0
		.amdhsa_system_vgpr_workitem_id 0
		.amdhsa_next_free_vgpr 133
		.amdhsa_next_free_sgpr 47
		.amdhsa_accum_offset 136
		.amdhsa_reserve_vcc 1
		.amdhsa_reserve_flat_scratch 1
		.amdhsa_float_round_mode_32 0
		.amdhsa_float_round_mode_16_64 0
		.amdhsa_float_denorm_mode_32 3
		.amdhsa_float_denorm_mode_16_64 3
		.amdhsa_dx10_clamp 1
		.amdhsa_ieee_mode 1
		.amdhsa_fp16_overflow 0
		.amdhsa_tg_split 0
		.amdhsa_exception_fp_ieee_invalid_op 0
		.amdhsa_exception_fp_denorm_src 0
		.amdhsa_exception_fp_ieee_div_zero 0
		.amdhsa_exception_fp_ieee_overflow 0
		.amdhsa_exception_fp_ieee_underflow 0
		.amdhsa_exception_fp_ieee_inexact 0
		.amdhsa_exception_int_div_zero 0
	.end_amdhsa_kernel
	.section	.text._ZN2ck19kernel_gemm_dl_v1r3INS_28GridwiseGemmDl_km_kn_mn_v1r3ILi256EaiaLNS_25InMemoryDataOperationEnumE0ENS_16TensorDescriptorINS_5TupleIJNS_5EmbedINS4_IJiiEEENS4_IJNS_17integral_constantIiLi1EEEiEEELb0EEENS_7UnMergeINS4_IJiNS7_IiLi4EEEEEELb0EEENS_11PassThroughIiEEEEENS4_IJNS_8SequenceIJLi0EEEENSI_IJLi2EEEENSI_IJLi1EEEEEEENS4_IJNSI_IJLi1ELi2EEEENSI_IJLi3ELi4EEEENSI_IJLi5EEEEEEENSI_IJLi3ELi5ELi4EEEElEENS3_INS4_IJNS5_IS6_NS4_IJiS8_EEELb0EEESE_SG_EEENS4_IJSJ_SL_SK_EEESQ_SR_lEENS3_INS4_IJSU_SG_SG_EEESW_NS4_IJSN_NSI_IJLi3EEEENSI_IJLi4EEEEEEESO_lEELi128ELi128ELi16ELi4ELi4ELi4ELi1ENSI_IJLi8ELi2EEEES13_NSI_IJLi2ELi1ELi4ELi4EEEENSI_IJLi8ELi1ELi32ELi1EEEENSI_IJLi0ELi3ELi1ELi2EEEES16_NSI_IJLi1ELi1ELi4ELi1EEEES16_NSI_IJLi1ELi1ELi4ELi4EEEES14_S15_S16_S16_S17_S16_S18_NSI_IJLi0ELi1ELi2ELi3ELi4ELi5EEEELi5ELi4EEEaaNS3_INS4_IJSA_SE_SG_SG_NSB_INS4_IJiNS7_IiLi128EEEEEELb0EEENSF_ISC_EEEEENS4_IJSJ_SK_SL_SZ_SP_S10_EEENS4_IJSN_SO_SP_NSI_IJLi6EEEENSI_IJLi7ELi8EEEENSI_IJLi9EEEEEEENSI_IJLi6ELi7ELi8ELi9EEEElEENS3_INS4_IJSU_SE_SG_SG_S1D_S1E_EEENS4_IJSJ_SL_SK_SZ_SP_S10_EEES1K_S1L_lEENS3_INS4_IJSU_SG_SG_NSB_INS4_IJiNS7_IiLi2EEENS7_IiLi64EEEEEELb0EEES1T_EEENS4_IJSJ_SL_SK_SZ_S10_EEENS4_IJSN_SZ_S10_NSI_IJLi5ELi6ELi7EEEENSI_IJLi8ELi9ELi10EEEEEEENSI_IJLi5ELi6ELi7ELi8ELi9ELi10EEEElEENS_31BlockToCTileMap_M00_N00_M01_N01ILi128ELi128ES12_Lb0EEELb1ELb0EEEvPKT0_S25_PT1_T2_T3_T4_T5_,"axG",@progbits,_ZN2ck19kernel_gemm_dl_v1r3INS_28GridwiseGemmDl_km_kn_mn_v1r3ILi256EaiaLNS_25InMemoryDataOperationEnumE0ENS_16TensorDescriptorINS_5TupleIJNS_5EmbedINS4_IJiiEEENS4_IJNS_17integral_constantIiLi1EEEiEEELb0EEENS_7UnMergeINS4_IJiNS7_IiLi4EEEEEELb0EEENS_11PassThroughIiEEEEENS4_IJNS_8SequenceIJLi0EEEENSI_IJLi2EEEENSI_IJLi1EEEEEEENS4_IJNSI_IJLi1ELi2EEEENSI_IJLi3ELi4EEEENSI_IJLi5EEEEEEENSI_IJLi3ELi5ELi4EEEElEENS3_INS4_IJNS5_IS6_NS4_IJiS8_EEELb0EEESE_SG_EEENS4_IJSJ_SL_SK_EEESQ_SR_lEENS3_INS4_IJSU_SG_SG_EEESW_NS4_IJSN_NSI_IJLi3EEEENSI_IJLi4EEEEEEESO_lEELi128ELi128ELi16ELi4ELi4ELi4ELi1ENSI_IJLi8ELi2EEEES13_NSI_IJLi2ELi1ELi4ELi4EEEENSI_IJLi8ELi1ELi32ELi1EEEENSI_IJLi0ELi3ELi1ELi2EEEES16_NSI_IJLi1ELi1ELi4ELi1EEEES16_NSI_IJLi1ELi1ELi4ELi4EEEES14_S15_S16_S16_S17_S16_S18_NSI_IJLi0ELi1ELi2ELi3ELi4ELi5EEEELi5ELi4EEEaaNS3_INS4_IJSA_SE_SG_SG_NSB_INS4_IJiNS7_IiLi128EEEEEELb0EEENSF_ISC_EEEEENS4_IJSJ_SK_SL_SZ_SP_S10_EEENS4_IJSN_SO_SP_NSI_IJLi6EEEENSI_IJLi7ELi8EEEENSI_IJLi9EEEEEEENSI_IJLi6ELi7ELi8ELi9EEEElEENS3_INS4_IJSU_SE_SG_SG_S1D_S1E_EEENS4_IJSJ_SL_SK_SZ_SP_S10_EEES1K_S1L_lEENS3_INS4_IJSU_SG_SG_NSB_INS4_IJiNS7_IiLi2EEENS7_IiLi64EEEEEELb0EEES1T_EEENS4_IJSJ_SL_SK_SZ_S10_EEENS4_IJSN_SZ_S10_NSI_IJLi5ELi6ELi7EEEENSI_IJLi8ELi9ELi10EEEEEEENSI_IJLi5ELi6ELi7ELi8ELi9ELi10EEEElEENS_31BlockToCTileMap_M00_N00_M01_N01ILi128ELi128ES12_Lb0EEELb1ELb0EEEvPKT0_S25_PT1_T2_T3_T4_T5_,comdat
.Lfunc_end3:
	.size	_ZN2ck19kernel_gemm_dl_v1r3INS_28GridwiseGemmDl_km_kn_mn_v1r3ILi256EaiaLNS_25InMemoryDataOperationEnumE0ENS_16TensorDescriptorINS_5TupleIJNS_5EmbedINS4_IJiiEEENS4_IJNS_17integral_constantIiLi1EEEiEEELb0EEENS_7UnMergeINS4_IJiNS7_IiLi4EEEEEELb0EEENS_11PassThroughIiEEEEENS4_IJNS_8SequenceIJLi0EEEENSI_IJLi2EEEENSI_IJLi1EEEEEEENS4_IJNSI_IJLi1ELi2EEEENSI_IJLi3ELi4EEEENSI_IJLi5EEEEEEENSI_IJLi3ELi5ELi4EEEElEENS3_INS4_IJNS5_IS6_NS4_IJiS8_EEELb0EEESE_SG_EEENS4_IJSJ_SL_SK_EEESQ_SR_lEENS3_INS4_IJSU_SG_SG_EEESW_NS4_IJSN_NSI_IJLi3EEEENSI_IJLi4EEEEEEESO_lEELi128ELi128ELi16ELi4ELi4ELi4ELi1ENSI_IJLi8ELi2EEEES13_NSI_IJLi2ELi1ELi4ELi4EEEENSI_IJLi8ELi1ELi32ELi1EEEENSI_IJLi0ELi3ELi1ELi2EEEES16_NSI_IJLi1ELi1ELi4ELi1EEEES16_NSI_IJLi1ELi1ELi4ELi4EEEES14_S15_S16_S16_S17_S16_S18_NSI_IJLi0ELi1ELi2ELi3ELi4ELi5EEEELi5ELi4EEEaaNS3_INS4_IJSA_SE_SG_SG_NSB_INS4_IJiNS7_IiLi128EEEEEELb0EEENSF_ISC_EEEEENS4_IJSJ_SK_SL_SZ_SP_S10_EEENS4_IJSN_SO_SP_NSI_IJLi6EEEENSI_IJLi7ELi8EEEENSI_IJLi9EEEEEEENSI_IJLi6ELi7ELi8ELi9EEEElEENS3_INS4_IJSU_SE_SG_SG_S1D_S1E_EEENS4_IJSJ_SL_SK_SZ_SP_S10_EEES1K_S1L_lEENS3_INS4_IJSU_SG_SG_NSB_INS4_IJiNS7_IiLi2EEENS7_IiLi64EEEEEELb0EEES1T_EEENS4_IJSJ_SL_SK_SZ_S10_EEENS4_IJSN_SZ_S10_NSI_IJLi5ELi6ELi7EEEENSI_IJLi8ELi9ELi10EEEEEEENSI_IJLi5ELi6ELi7ELi8ELi9ELi10EEEElEENS_31BlockToCTileMap_M00_N00_M01_N01ILi128ELi128ES12_Lb0EEELb1ELb0EEEvPKT0_S25_PT1_T2_T3_T4_T5_, .Lfunc_end3-_ZN2ck19kernel_gemm_dl_v1r3INS_28GridwiseGemmDl_km_kn_mn_v1r3ILi256EaiaLNS_25InMemoryDataOperationEnumE0ENS_16TensorDescriptorINS_5TupleIJNS_5EmbedINS4_IJiiEEENS4_IJNS_17integral_constantIiLi1EEEiEEELb0EEENS_7UnMergeINS4_IJiNS7_IiLi4EEEEEELb0EEENS_11PassThroughIiEEEEENS4_IJNS_8SequenceIJLi0EEEENSI_IJLi2EEEENSI_IJLi1EEEEEEENS4_IJNSI_IJLi1ELi2EEEENSI_IJLi3ELi4EEEENSI_IJLi5EEEEEEENSI_IJLi3ELi5ELi4EEEElEENS3_INS4_IJNS5_IS6_NS4_IJiS8_EEELb0EEESE_SG_EEENS4_IJSJ_SL_SK_EEESQ_SR_lEENS3_INS4_IJSU_SG_SG_EEESW_NS4_IJSN_NSI_IJLi3EEEENSI_IJLi4EEEEEEESO_lEELi128ELi128ELi16ELi4ELi4ELi4ELi1ENSI_IJLi8ELi2EEEES13_NSI_IJLi2ELi1ELi4ELi4EEEENSI_IJLi8ELi1ELi32ELi1EEEENSI_IJLi0ELi3ELi1ELi2EEEES16_NSI_IJLi1ELi1ELi4ELi1EEEES16_NSI_IJLi1ELi1ELi4ELi4EEEES14_S15_S16_S16_S17_S16_S18_NSI_IJLi0ELi1ELi2ELi3ELi4ELi5EEEELi5ELi4EEEaaNS3_INS4_IJSA_SE_SG_SG_NSB_INS4_IJiNS7_IiLi128EEEEEELb0EEENSF_ISC_EEEEENS4_IJSJ_SK_SL_SZ_SP_S10_EEENS4_IJSN_SO_SP_NSI_IJLi6EEEENSI_IJLi7ELi8EEEENSI_IJLi9EEEEEEENSI_IJLi6ELi7ELi8ELi9EEEElEENS3_INS4_IJSU_SE_SG_SG_S1D_S1E_EEENS4_IJSJ_SL_SK_SZ_SP_S10_EEES1K_S1L_lEENS3_INS4_IJSU_SG_SG_NSB_INS4_IJiNS7_IiLi2EEENS7_IiLi64EEEEEELb0EEES1T_EEENS4_IJSJ_SL_SK_SZ_S10_EEENS4_IJSN_SZ_S10_NSI_IJLi5ELi6ELi7EEEENSI_IJLi8ELi9ELi10EEEEEEENSI_IJLi5ELi6ELi7ELi8ELi9ELi10EEEElEENS_31BlockToCTileMap_M00_N00_M01_N01ILi128ELi128ES12_Lb0EEELb1ELb0EEEvPKT0_S25_PT1_T2_T3_T4_T5_
                                        ; -- End function
	.section	.AMDGPU.csdata,"",@progbits
; Kernel info:
; codeLenInByte = 12224
; NumSgprs: 53
; NumVgprs: 133
; NumAgprs: 0
; TotalNumVgprs: 133
; ScratchSize: 480
; MemoryBound: 0
; FloatMode: 240
; IeeeMode: 1
; LDSByteSize: 32768 bytes/workgroup (compile time only)
; SGPRBlocks: 6
; VGPRBlocks: 16
; NumSGPRsForWavesPerEU: 53
; NumVGPRsForWavesPerEU: 133
; AccumOffset: 136
; Occupancy: 2
; WaveLimiterHint : 1
; COMPUTE_PGM_RSRC2:SCRATCH_EN: 1
; COMPUTE_PGM_RSRC2:USER_SGPR: 8
; COMPUTE_PGM_RSRC2:TRAP_HANDLER: 0
; COMPUTE_PGM_RSRC2:TGID_X_EN: 1
; COMPUTE_PGM_RSRC2:TGID_Y_EN: 0
; COMPUTE_PGM_RSRC2:TGID_Z_EN: 0
; COMPUTE_PGM_RSRC2:TIDIG_COMP_CNT: 0
; COMPUTE_PGM_RSRC3_GFX90A:ACCUM_OFFSET: 33
; COMPUTE_PGM_RSRC3_GFX90A:TG_SPLIT: 0
	.section	.text._ZN2ck19kernel_gemm_dl_v1r3INS_28GridwiseGemmDl_km_kn_mn_v1r3ILi256EaiaLNS_25InMemoryDataOperationEnumE0ENS_16TensorDescriptorINS_5TupleIJNS_5EmbedINS4_IJiiEEENS4_IJNS_17integral_constantIiLi1EEEiEEELb0EEENS_7UnMergeINS4_IJiNS7_IiLi4EEEEEELb0EEENS_11PassThroughIiEEEEENS4_IJNS_8SequenceIJLi0EEEENSI_IJLi2EEEENSI_IJLi1EEEEEEENS4_IJNSI_IJLi1ELi2EEEENSI_IJLi3ELi4EEEENSI_IJLi5EEEEEEENSI_IJLi3ELi5ELi4EEEElEENS3_INS4_IJNS5_IS6_NS4_IJiS8_EEELb0EEESE_SG_EEENS4_IJSJ_SL_SK_EEESQ_SR_lEENS3_INS4_IJSU_SG_SG_EEESW_NS4_IJSN_NSI_IJLi3EEEENSI_IJLi4EEEEEEESO_lEELi128ELi128ELi16ELi4ELi4ELi4ELi1ENSI_IJLi8ELi2EEEES13_NSI_IJLi2ELi1ELi4ELi4EEEENSI_IJLi8ELi1ELi32ELi1EEEENSI_IJLi0ELi3ELi1ELi2EEEES16_NSI_IJLi1ELi1ELi4ELi1EEEES16_NSI_IJLi1ELi1ELi4ELi4EEEES14_S15_S16_S16_S17_S16_S18_NSI_IJLi0ELi1ELi2ELi3ELi4ELi5EEEELi5ELi4EEEaaNS3_INS4_IJSA_SE_SG_SG_NSB_INS4_IJiNS7_IiLi128EEEEEELb0EEENSF_ISC_EEEEENS4_IJSJ_SK_SL_SZ_SP_S10_EEENS4_IJSN_SO_SP_NSI_IJLi6EEEENSI_IJLi7ELi8EEEENSI_IJLi9EEEEEEENSI_IJLi6ELi7ELi8ELi9EEEElEENS3_INS4_IJSU_SE_SG_SG_S1D_S1E_EEENS4_IJSJ_SL_SK_SZ_SP_S10_EEES1K_S1L_lEENS3_INS4_IJSU_SG_SG_NSB_INS4_IJiNS7_IiLi2EEENS7_IiLi64EEEEEELb0EEES1T_EEENS4_IJSJ_SL_SK_SZ_S10_EEENS4_IJSN_SZ_S10_NSI_IJLi5ELi6ELi7EEEENSI_IJLi8ELi9ELi10EEEEEEENSI_IJLi5ELi6ELi7ELi8ELi9ELi10EEEElEENS_31BlockToCTileMap_M00_N00_M01_N01ILi128ELi128ES12_Lb0EEELb0ELb1EEEvPKT0_S25_PT1_T2_T3_T4_T5_,"axG",@progbits,_ZN2ck19kernel_gemm_dl_v1r3INS_28GridwiseGemmDl_km_kn_mn_v1r3ILi256EaiaLNS_25InMemoryDataOperationEnumE0ENS_16TensorDescriptorINS_5TupleIJNS_5EmbedINS4_IJiiEEENS4_IJNS_17integral_constantIiLi1EEEiEEELb0EEENS_7UnMergeINS4_IJiNS7_IiLi4EEEEEELb0EEENS_11PassThroughIiEEEEENS4_IJNS_8SequenceIJLi0EEEENSI_IJLi2EEEENSI_IJLi1EEEEEEENS4_IJNSI_IJLi1ELi2EEEENSI_IJLi3ELi4EEEENSI_IJLi5EEEEEEENSI_IJLi3ELi5ELi4EEEElEENS3_INS4_IJNS5_IS6_NS4_IJiS8_EEELb0EEESE_SG_EEENS4_IJSJ_SL_SK_EEESQ_SR_lEENS3_INS4_IJSU_SG_SG_EEESW_NS4_IJSN_NSI_IJLi3EEEENSI_IJLi4EEEEEEESO_lEELi128ELi128ELi16ELi4ELi4ELi4ELi1ENSI_IJLi8ELi2EEEES13_NSI_IJLi2ELi1ELi4ELi4EEEENSI_IJLi8ELi1ELi32ELi1EEEENSI_IJLi0ELi3ELi1ELi2EEEES16_NSI_IJLi1ELi1ELi4ELi1EEEES16_NSI_IJLi1ELi1ELi4ELi4EEEES14_S15_S16_S16_S17_S16_S18_NSI_IJLi0ELi1ELi2ELi3ELi4ELi5EEEELi5ELi4EEEaaNS3_INS4_IJSA_SE_SG_SG_NSB_INS4_IJiNS7_IiLi128EEEEEELb0EEENSF_ISC_EEEEENS4_IJSJ_SK_SL_SZ_SP_S10_EEENS4_IJSN_SO_SP_NSI_IJLi6EEEENSI_IJLi7ELi8EEEENSI_IJLi9EEEEEEENSI_IJLi6ELi7ELi8ELi9EEEElEENS3_INS4_IJSU_SE_SG_SG_S1D_S1E_EEENS4_IJSJ_SL_SK_SZ_SP_S10_EEES1K_S1L_lEENS3_INS4_IJSU_SG_SG_NSB_INS4_IJiNS7_IiLi2EEENS7_IiLi64EEEEEELb0EEES1T_EEENS4_IJSJ_SL_SK_SZ_S10_EEENS4_IJSN_SZ_S10_NSI_IJLi5ELi6ELi7EEEENSI_IJLi8ELi9ELi10EEEEEEENSI_IJLi5ELi6ELi7ELi8ELi9ELi10EEEElEENS_31BlockToCTileMap_M00_N00_M01_N01ILi128ELi128ES12_Lb0EEELb0ELb1EEEvPKT0_S25_PT1_T2_T3_T4_T5_,comdat
	.protected	_ZN2ck19kernel_gemm_dl_v1r3INS_28GridwiseGemmDl_km_kn_mn_v1r3ILi256EaiaLNS_25InMemoryDataOperationEnumE0ENS_16TensorDescriptorINS_5TupleIJNS_5EmbedINS4_IJiiEEENS4_IJNS_17integral_constantIiLi1EEEiEEELb0EEENS_7UnMergeINS4_IJiNS7_IiLi4EEEEEELb0EEENS_11PassThroughIiEEEEENS4_IJNS_8SequenceIJLi0EEEENSI_IJLi2EEEENSI_IJLi1EEEEEEENS4_IJNSI_IJLi1ELi2EEEENSI_IJLi3ELi4EEEENSI_IJLi5EEEEEEENSI_IJLi3ELi5ELi4EEEElEENS3_INS4_IJNS5_IS6_NS4_IJiS8_EEELb0EEESE_SG_EEENS4_IJSJ_SL_SK_EEESQ_SR_lEENS3_INS4_IJSU_SG_SG_EEESW_NS4_IJSN_NSI_IJLi3EEEENSI_IJLi4EEEEEEESO_lEELi128ELi128ELi16ELi4ELi4ELi4ELi1ENSI_IJLi8ELi2EEEES13_NSI_IJLi2ELi1ELi4ELi4EEEENSI_IJLi8ELi1ELi32ELi1EEEENSI_IJLi0ELi3ELi1ELi2EEEES16_NSI_IJLi1ELi1ELi4ELi1EEEES16_NSI_IJLi1ELi1ELi4ELi4EEEES14_S15_S16_S16_S17_S16_S18_NSI_IJLi0ELi1ELi2ELi3ELi4ELi5EEEELi5ELi4EEEaaNS3_INS4_IJSA_SE_SG_SG_NSB_INS4_IJiNS7_IiLi128EEEEEELb0EEENSF_ISC_EEEEENS4_IJSJ_SK_SL_SZ_SP_S10_EEENS4_IJSN_SO_SP_NSI_IJLi6EEEENSI_IJLi7ELi8EEEENSI_IJLi9EEEEEEENSI_IJLi6ELi7ELi8ELi9EEEElEENS3_INS4_IJSU_SE_SG_SG_S1D_S1E_EEENS4_IJSJ_SL_SK_SZ_SP_S10_EEES1K_S1L_lEENS3_INS4_IJSU_SG_SG_NSB_INS4_IJiNS7_IiLi2EEENS7_IiLi64EEEEEELb0EEES1T_EEENS4_IJSJ_SL_SK_SZ_S10_EEENS4_IJSN_SZ_S10_NSI_IJLi5ELi6ELi7EEEENSI_IJLi8ELi9ELi10EEEEEEENSI_IJLi5ELi6ELi7ELi8ELi9ELi10EEEElEENS_31BlockToCTileMap_M00_N00_M01_N01ILi128ELi128ES12_Lb0EEELb0ELb1EEEvPKT0_S25_PT1_T2_T3_T4_T5_ ; -- Begin function _ZN2ck19kernel_gemm_dl_v1r3INS_28GridwiseGemmDl_km_kn_mn_v1r3ILi256EaiaLNS_25InMemoryDataOperationEnumE0ENS_16TensorDescriptorINS_5TupleIJNS_5EmbedINS4_IJiiEEENS4_IJNS_17integral_constantIiLi1EEEiEEELb0EEENS_7UnMergeINS4_IJiNS7_IiLi4EEEEEELb0EEENS_11PassThroughIiEEEEENS4_IJNS_8SequenceIJLi0EEEENSI_IJLi2EEEENSI_IJLi1EEEEEEENS4_IJNSI_IJLi1ELi2EEEENSI_IJLi3ELi4EEEENSI_IJLi5EEEEEEENSI_IJLi3ELi5ELi4EEEElEENS3_INS4_IJNS5_IS6_NS4_IJiS8_EEELb0EEESE_SG_EEENS4_IJSJ_SL_SK_EEESQ_SR_lEENS3_INS4_IJSU_SG_SG_EEESW_NS4_IJSN_NSI_IJLi3EEEENSI_IJLi4EEEEEEESO_lEELi128ELi128ELi16ELi4ELi4ELi4ELi1ENSI_IJLi8ELi2EEEES13_NSI_IJLi2ELi1ELi4ELi4EEEENSI_IJLi8ELi1ELi32ELi1EEEENSI_IJLi0ELi3ELi1ELi2EEEES16_NSI_IJLi1ELi1ELi4ELi1EEEES16_NSI_IJLi1ELi1ELi4ELi4EEEES14_S15_S16_S16_S17_S16_S18_NSI_IJLi0ELi1ELi2ELi3ELi4ELi5EEEELi5ELi4EEEaaNS3_INS4_IJSA_SE_SG_SG_NSB_INS4_IJiNS7_IiLi128EEEEEELb0EEENSF_ISC_EEEEENS4_IJSJ_SK_SL_SZ_SP_S10_EEENS4_IJSN_SO_SP_NSI_IJLi6EEEENSI_IJLi7ELi8EEEENSI_IJLi9EEEEEEENSI_IJLi6ELi7ELi8ELi9EEEElEENS3_INS4_IJSU_SE_SG_SG_S1D_S1E_EEENS4_IJSJ_SL_SK_SZ_SP_S10_EEES1K_S1L_lEENS3_INS4_IJSU_SG_SG_NSB_INS4_IJiNS7_IiLi2EEENS7_IiLi64EEEEEELb0EEES1T_EEENS4_IJSJ_SL_SK_SZ_S10_EEENS4_IJSN_SZ_S10_NSI_IJLi5ELi6ELi7EEEENSI_IJLi8ELi9ELi10EEEEEEENSI_IJLi5ELi6ELi7ELi8ELi9ELi10EEEElEENS_31BlockToCTileMap_M00_N00_M01_N01ILi128ELi128ES12_Lb0EEELb0ELb1EEEvPKT0_S25_PT1_T2_T3_T4_T5_
	.globl	_ZN2ck19kernel_gemm_dl_v1r3INS_28GridwiseGemmDl_km_kn_mn_v1r3ILi256EaiaLNS_25InMemoryDataOperationEnumE0ENS_16TensorDescriptorINS_5TupleIJNS_5EmbedINS4_IJiiEEENS4_IJNS_17integral_constantIiLi1EEEiEEELb0EEENS_7UnMergeINS4_IJiNS7_IiLi4EEEEEELb0EEENS_11PassThroughIiEEEEENS4_IJNS_8SequenceIJLi0EEEENSI_IJLi2EEEENSI_IJLi1EEEEEEENS4_IJNSI_IJLi1ELi2EEEENSI_IJLi3ELi4EEEENSI_IJLi5EEEEEEENSI_IJLi3ELi5ELi4EEEElEENS3_INS4_IJNS5_IS6_NS4_IJiS8_EEELb0EEESE_SG_EEENS4_IJSJ_SL_SK_EEESQ_SR_lEENS3_INS4_IJSU_SG_SG_EEESW_NS4_IJSN_NSI_IJLi3EEEENSI_IJLi4EEEEEEESO_lEELi128ELi128ELi16ELi4ELi4ELi4ELi1ENSI_IJLi8ELi2EEEES13_NSI_IJLi2ELi1ELi4ELi4EEEENSI_IJLi8ELi1ELi32ELi1EEEENSI_IJLi0ELi3ELi1ELi2EEEES16_NSI_IJLi1ELi1ELi4ELi1EEEES16_NSI_IJLi1ELi1ELi4ELi4EEEES14_S15_S16_S16_S17_S16_S18_NSI_IJLi0ELi1ELi2ELi3ELi4ELi5EEEELi5ELi4EEEaaNS3_INS4_IJSA_SE_SG_SG_NSB_INS4_IJiNS7_IiLi128EEEEEELb0EEENSF_ISC_EEEEENS4_IJSJ_SK_SL_SZ_SP_S10_EEENS4_IJSN_SO_SP_NSI_IJLi6EEEENSI_IJLi7ELi8EEEENSI_IJLi9EEEEEEENSI_IJLi6ELi7ELi8ELi9EEEElEENS3_INS4_IJSU_SE_SG_SG_S1D_S1E_EEENS4_IJSJ_SL_SK_SZ_SP_S10_EEES1K_S1L_lEENS3_INS4_IJSU_SG_SG_NSB_INS4_IJiNS7_IiLi2EEENS7_IiLi64EEEEEELb0EEES1T_EEENS4_IJSJ_SL_SK_SZ_S10_EEENS4_IJSN_SZ_S10_NSI_IJLi5ELi6ELi7EEEENSI_IJLi8ELi9ELi10EEEEEEENSI_IJLi5ELi6ELi7ELi8ELi9ELi10EEEElEENS_31BlockToCTileMap_M00_N00_M01_N01ILi128ELi128ES12_Lb0EEELb0ELb1EEEvPKT0_S25_PT1_T2_T3_T4_T5_
	.p2align	8
	.type	_ZN2ck19kernel_gemm_dl_v1r3INS_28GridwiseGemmDl_km_kn_mn_v1r3ILi256EaiaLNS_25InMemoryDataOperationEnumE0ENS_16TensorDescriptorINS_5TupleIJNS_5EmbedINS4_IJiiEEENS4_IJNS_17integral_constantIiLi1EEEiEEELb0EEENS_7UnMergeINS4_IJiNS7_IiLi4EEEEEELb0EEENS_11PassThroughIiEEEEENS4_IJNS_8SequenceIJLi0EEEENSI_IJLi2EEEENSI_IJLi1EEEEEEENS4_IJNSI_IJLi1ELi2EEEENSI_IJLi3ELi4EEEENSI_IJLi5EEEEEEENSI_IJLi3ELi5ELi4EEEElEENS3_INS4_IJNS5_IS6_NS4_IJiS8_EEELb0EEESE_SG_EEENS4_IJSJ_SL_SK_EEESQ_SR_lEENS3_INS4_IJSU_SG_SG_EEESW_NS4_IJSN_NSI_IJLi3EEEENSI_IJLi4EEEEEEESO_lEELi128ELi128ELi16ELi4ELi4ELi4ELi1ENSI_IJLi8ELi2EEEES13_NSI_IJLi2ELi1ELi4ELi4EEEENSI_IJLi8ELi1ELi32ELi1EEEENSI_IJLi0ELi3ELi1ELi2EEEES16_NSI_IJLi1ELi1ELi4ELi1EEEES16_NSI_IJLi1ELi1ELi4ELi4EEEES14_S15_S16_S16_S17_S16_S18_NSI_IJLi0ELi1ELi2ELi3ELi4ELi5EEEELi5ELi4EEEaaNS3_INS4_IJSA_SE_SG_SG_NSB_INS4_IJiNS7_IiLi128EEEEEELb0EEENSF_ISC_EEEEENS4_IJSJ_SK_SL_SZ_SP_S10_EEENS4_IJSN_SO_SP_NSI_IJLi6EEEENSI_IJLi7ELi8EEEENSI_IJLi9EEEEEEENSI_IJLi6ELi7ELi8ELi9EEEElEENS3_INS4_IJSU_SE_SG_SG_S1D_S1E_EEENS4_IJSJ_SL_SK_SZ_SP_S10_EEES1K_S1L_lEENS3_INS4_IJSU_SG_SG_NSB_INS4_IJiNS7_IiLi2EEENS7_IiLi64EEEEEELb0EEES1T_EEENS4_IJSJ_SL_SK_SZ_S10_EEENS4_IJSN_SZ_S10_NSI_IJLi5ELi6ELi7EEEENSI_IJLi8ELi9ELi10EEEEEEENSI_IJLi5ELi6ELi7ELi8ELi9ELi10EEEElEENS_31BlockToCTileMap_M00_N00_M01_N01ILi128ELi128ES12_Lb0EEELb0ELb1EEEvPKT0_S25_PT1_T2_T3_T4_T5_,@function
_ZN2ck19kernel_gemm_dl_v1r3INS_28GridwiseGemmDl_km_kn_mn_v1r3ILi256EaiaLNS_25InMemoryDataOperationEnumE0ENS_16TensorDescriptorINS_5TupleIJNS_5EmbedINS4_IJiiEEENS4_IJNS_17integral_constantIiLi1EEEiEEELb0EEENS_7UnMergeINS4_IJiNS7_IiLi4EEEEEELb0EEENS_11PassThroughIiEEEEENS4_IJNS_8SequenceIJLi0EEEENSI_IJLi2EEEENSI_IJLi1EEEEEEENS4_IJNSI_IJLi1ELi2EEEENSI_IJLi3ELi4EEEENSI_IJLi5EEEEEEENSI_IJLi3ELi5ELi4EEEElEENS3_INS4_IJNS5_IS6_NS4_IJiS8_EEELb0EEESE_SG_EEENS4_IJSJ_SL_SK_EEESQ_SR_lEENS3_INS4_IJSU_SG_SG_EEESW_NS4_IJSN_NSI_IJLi3EEEENSI_IJLi4EEEEEEESO_lEELi128ELi128ELi16ELi4ELi4ELi4ELi1ENSI_IJLi8ELi2EEEES13_NSI_IJLi2ELi1ELi4ELi4EEEENSI_IJLi8ELi1ELi32ELi1EEEENSI_IJLi0ELi3ELi1ELi2EEEES16_NSI_IJLi1ELi1ELi4ELi1EEEES16_NSI_IJLi1ELi1ELi4ELi4EEEES14_S15_S16_S16_S17_S16_S18_NSI_IJLi0ELi1ELi2ELi3ELi4ELi5EEEELi5ELi4EEEaaNS3_INS4_IJSA_SE_SG_SG_NSB_INS4_IJiNS7_IiLi128EEEEEELb0EEENSF_ISC_EEEEENS4_IJSJ_SK_SL_SZ_SP_S10_EEENS4_IJSN_SO_SP_NSI_IJLi6EEEENSI_IJLi7ELi8EEEENSI_IJLi9EEEEEEENSI_IJLi6ELi7ELi8ELi9EEEElEENS3_INS4_IJSU_SE_SG_SG_S1D_S1E_EEENS4_IJSJ_SL_SK_SZ_SP_S10_EEES1K_S1L_lEENS3_INS4_IJSU_SG_SG_NSB_INS4_IJiNS7_IiLi2EEENS7_IiLi64EEEEEELb0EEES1T_EEENS4_IJSJ_SL_SK_SZ_S10_EEENS4_IJSN_SZ_S10_NSI_IJLi5ELi6ELi7EEEENSI_IJLi8ELi9ELi10EEEEEEENSI_IJLi5ELi6ELi7ELi8ELi9ELi10EEEElEENS_31BlockToCTileMap_M00_N00_M01_N01ILi128ELi128ES12_Lb0EEELb0ELb1EEEvPKT0_S25_PT1_T2_T3_T4_T5_: ; @_ZN2ck19kernel_gemm_dl_v1r3INS_28GridwiseGemmDl_km_kn_mn_v1r3ILi256EaiaLNS_25InMemoryDataOperationEnumE0ENS_16TensorDescriptorINS_5TupleIJNS_5EmbedINS4_IJiiEEENS4_IJNS_17integral_constantIiLi1EEEiEEELb0EEENS_7UnMergeINS4_IJiNS7_IiLi4EEEEEELb0EEENS_11PassThroughIiEEEEENS4_IJNS_8SequenceIJLi0EEEENSI_IJLi2EEEENSI_IJLi1EEEEEEENS4_IJNSI_IJLi1ELi2EEEENSI_IJLi3ELi4EEEENSI_IJLi5EEEEEEENSI_IJLi3ELi5ELi4EEEElEENS3_INS4_IJNS5_IS6_NS4_IJiS8_EEELb0EEESE_SG_EEENS4_IJSJ_SL_SK_EEESQ_SR_lEENS3_INS4_IJSU_SG_SG_EEESW_NS4_IJSN_NSI_IJLi3EEEENSI_IJLi4EEEEEEESO_lEELi128ELi128ELi16ELi4ELi4ELi4ELi1ENSI_IJLi8ELi2EEEES13_NSI_IJLi2ELi1ELi4ELi4EEEENSI_IJLi8ELi1ELi32ELi1EEEENSI_IJLi0ELi3ELi1ELi2EEEES16_NSI_IJLi1ELi1ELi4ELi1EEEES16_NSI_IJLi1ELi1ELi4ELi4EEEES14_S15_S16_S16_S17_S16_S18_NSI_IJLi0ELi1ELi2ELi3ELi4ELi5EEEELi5ELi4EEEaaNS3_INS4_IJSA_SE_SG_SG_NSB_INS4_IJiNS7_IiLi128EEEEEELb0EEENSF_ISC_EEEEENS4_IJSJ_SK_SL_SZ_SP_S10_EEENS4_IJSN_SO_SP_NSI_IJLi6EEEENSI_IJLi7ELi8EEEENSI_IJLi9EEEEEEENSI_IJLi6ELi7ELi8ELi9EEEElEENS3_INS4_IJSU_SE_SG_SG_S1D_S1E_EEENS4_IJSJ_SL_SK_SZ_SP_S10_EEES1K_S1L_lEENS3_INS4_IJSU_SG_SG_NSB_INS4_IJiNS7_IiLi2EEENS7_IiLi64EEEEEELb0EEES1T_EEENS4_IJSJ_SL_SK_SZ_S10_EEENS4_IJSN_SZ_S10_NSI_IJLi5ELi6ELi7EEEENSI_IJLi8ELi9ELi10EEEEEEENSI_IJLi5ELi6ELi7ELi8ELi9ELi10EEEElEENS_31BlockToCTileMap_M00_N00_M01_N01ILi128ELi128ES12_Lb0EEELb0ELb1EEEvPKT0_S25_PT1_T2_T3_T4_T5_
; %bb.0:
	s_add_u32 flat_scratch_lo, s6, s9
	s_addc_u32 flat_scratch_hi, s7, 0
	s_add_u32 s0, s0, s9
	s_load_dwordx4 s[20:23], s[4:5], 0x0
	s_load_dwordx2 s[12:13], s[4:5], 0x10
	s_load_dwordx4 s[24:27], s[4:5], 0x108
	s_load_dwordx4 s[36:39], s[4:5], 0x11c
	;; [unrolled: 1-line block ×3, first 2 shown]
	s_load_dword s28, s[4:5], 0x24
	s_load_dword s18, s[4:5], 0x50
	;; [unrolled: 1-line block ×8, first 2 shown]
	s_waitcnt lgkmcnt(0)
	s_mul_hi_u32 s4, s39, s8
	s_addc_u32 s1, s1, 0
	s_add_i32 s4, s8, s4
	s_lshr_b32 s29, s4, s43
	s_mul_hi_u32 s4, s29, s38
	s_add_i32 s4, s29, s4
	s_lshr_b32 s30, s4, s42
	s_mul_hi_u32 s5, s30, s37
	s_add_i32 s5, s30, s5
	s_mul_i32 s4, s30, s26
	s_lshr_b32 s26, s5, s41
	s_mul_hi_u32 s5, s26, s36
	s_add_i32 s5, s26, s5
	s_lshr_b32 s5, s5, s40
	s_mul_i32 s5, s5, s24
	s_sub_i32 s5, s26, s5
	s_sub_i32 s4, s29, s4
	s_mul_i32 s5, s5, s7
	v_lshrrev_b32_e32 v1, 4, v0
	s_add_i32 s4, s4, s5
	v_and_b32_e32 v4, 14, v1
	v_lshlrev_b32_e32 v1, 2, v0
	v_and_b32_e32 v5, 0x7c, v1
	s_lshl_b32 s11, s4, 7
	v_or_b32_e32 v2, s11, v5
	v_lshlrev_b32_e32 v6, 2, v4
	v_mad_u64_u32 v[2:3], s[4:5], s28, v6, v[2:3]
	v_lshrrev_b32_e32 v3, 5, v0
	v_lshlrev_b32_e32 v0, 1, v0
	v_and_b32_e32 v8, 0x1f8, v0
	v_and_b32_e32 v0, 0x1fc, v0
	v_lshlrev_b32_e32 v7, 6, v3
	v_sub_u32_e32 v0, v0, v8
	v_sub_u32_e32 v7, v8, v7
	v_lshl_add_u32 v35, v3, 3, v0
	v_and_or_b32 v34, v1, 4, v7
	v_mov_b32_e32 v36, 0
	v_lshlrev_b32_e32 v0, 2, v35
	buffer_store_dword v36, off, s[0:3], 0 offset:64
	buffer_store_dword v35, off, s[0:3], 0 offset:68
	;; [unrolled: 1-line block ×12, first 2 shown]
	v_lshlrev_b32_e32 v0, 2, v34
	s_mov_b64 s[4:5], src_shared_base
	buffer_store_dword v0, off, s[0:3], 0 offset:112
	buffer_store_dword v36, off, s[0:3], 0 offset:116
	;; [unrolled: 1-line block ×72, first 2 shown]
	v_mov_b32_e32 v0, s5
	v_mov_b32_e32 v1, 0x4000
	buffer_store_dword v0, off, s[0:3], 0 offset:404
	buffer_store_dword v36, off, s[0:3], 0 offset:400
	buffer_store_byte v36, off, s[0:3], 0 offset:409
	buffer_store_dword v0, off, s[0:3], 0 offset:420
	buffer_store_dword v1, off, s[0:3], 0 offset:416
	buffer_store_byte v36, off, s[0:3], 0 offset:425
	buffer_store_dword v0, off, s[0:3], 0 offset:436
	v_mov_b32_e32 v1, 0x2000
	buffer_store_dword v1, off, s[0:3], 0 offset:432
	buffer_store_byte v36, off, s[0:3], 0 offset:441
	buffer_store_dword v0, off, s[0:3], 0 offset:452
	v_mov_b32_e32 v0, 0x6000
	buffer_store_dword v0, off, s[0:3], 0 offset:448
	buffer_store_byte v36, off, s[0:3], 0 offset:457
	s_mov_b32 s19, 0x20000
	s_mov_b32 s16, s20
	;; [unrolled: 1-line block ×3, first 2 shown]
	v_add_u32_e32 v1, s28, v2
	buffer_load_dword v3, v2, s[16:19], 0 offen
	buffer_load_dword v7, v1, s[16:19], 0 offen
	v_add_u32_e32 v0, s28, v1
	s_mul_i32 s26, s26, s25
	v_add_u32_e32 v8, s28, v0
	buffer_load_dword v9, v0, s[16:19], 0 offen
	buffer_load_dword v10, v8, s[16:19], 0 offen
	s_mul_i32 s29, s29, s27
	s_sub_i32 s5, s30, s26
	s_lshl_b32 s21, s28, 2
	s_sub_i32 s4, s8, s29
	s_mul_i32 s5, s5, s15
	v_add_u32_e32 v8, s21, v8
	s_add_i32 s4, s4, s5
	v_add_u32_e32 v11, s21, v0
	buffer_load_dword v12, v8, s[16:19], 0 offen
	buffer_load_dword v13, v11, s[16:19], 0 offen
	s_lshl_b32 s15, s4, 7
	v_or_b32_e32 v0, s15, v5
	v_add_u32_e32 v14, s21, v1
	v_add_u32_e32 v15, s21, v2
	buffer_load_dword v16, v14, s[16:19], 0 offen
	buffer_load_dword v17, v15, s[16:19], 0 offen
	v_mad_u64_u32 v[0:1], s[4:5], s9, v6, v[0:1]
	s_mov_b32 s4, s22
	s_mov_b32 s5, s23
	;; [unrolled: 1-line block ×3, first 2 shown]
	v_add_u32_e32 v1, s9, v0
	s_nop 0
	buffer_load_dword v6, v0, s[4:7], 0 offen
	buffer_load_dword v18, v1, s[4:7], 0 offen
	v_add_u32_e32 v2, s9, v1
	v_add_u32_e32 v19, s9, v2
	buffer_load_dword v20, v2, s[4:7], 0 offen
	buffer_load_dword v21, v19, s[4:7], 0 offen
	s_lshl_b32 s22, s9, 2
	v_add_u32_e32 v19, s22, v19
	v_add_u32_e32 v22, s22, v2
	buffer_load_dword v23, v19, s[4:7], 0 offen
	buffer_load_dword v24, v22, s[4:7], 0 offen
	v_add_u32_e32 v25, s22, v1
	v_add_u32_e32 v26, s22, v0
	buffer_load_dword v27, v25, s[4:7], 0 offen
	buffer_load_dword v28, v26, s[4:7], 0 offen
	s_movk_i32 s20, 0xff00
	v_lshlrev_b32_e32 v0, 2, v5
	s_movk_i32 s8, 0xff
	v_mov_b32_e32 v5, 8
	v_lshl_or_b32 v37, v4, 9, v0
	s_mul_i32 s23, s28, 60
	s_movk_i32 s32, 0x7800
	s_waitcnt vmcnt(15)
	v_and_b32_sdwa v0, v3, s8 dst_sel:DWORD dst_unused:UNUSED_PAD src0_sel:WORD_1 src1_sel:DWORD
	s_waitcnt vmcnt(14)
	v_and_b32_sdwa v1, v7, s20 dst_sel:DWORD dst_unused:UNUSED_PAD src0_sel:WORD_1 src1_sel:DWORD
	v_or_b32_sdwa v4, v3, v1 dst_sel:DWORD dst_unused:UNUSED_PAD src0_sel:BYTE_3 src1_sel:DWORD
	v_lshlrev_b16_sdwa v1, v5, v7 dst_sel:DWORD dst_unused:UNUSED_PAD src0_sel:DWORD src1_sel:WORD_1
	v_or_b32_e32 v2, v0, v1
	v_and_b32_e32 v0, 0xffffff00, v7
	v_or_b32_sdwa v1, v3, v0 dst_sel:DWORD dst_unused:UNUSED_PAD src0_sel:BYTE_1 src1_sel:DWORD
	s_waitcnt vmcnt(13)
	v_and_b32_sdwa v0, v9, s8 dst_sel:DWORD dst_unused:UNUSED_PAD src0_sel:WORD_1 src1_sel:DWORD
	s_waitcnt vmcnt(12)
	v_lshlrev_b16_sdwa v30, v5, v10 dst_sel:DWORD dst_unused:UNUSED_PAD src0_sel:DWORD src1_sel:WORD_1
	v_or_b32_sdwa v30, v0, v30 dst_sel:WORD_1 dst_unused:UNUSED_PAD src0_sel:DWORD src1_sel:DWORD
	v_and_b32_e32 v0, 0xffffff00, v10
	v_or_b32_sdwa v31, v9, v0 dst_sel:WORD_1 dst_unused:UNUSED_PAD src0_sel:BYTE_1 src1_sel:DWORD
	v_and_b32_sdwa v29, v10, s20 dst_sel:DWORD dst_unused:UNUSED_PAD src0_sel:WORD_1 src1_sel:DWORD
	s_waitcnt vmcnt(11)
	v_and_b32_sdwa v0, v12, s20 dst_sel:DWORD dst_unused:UNUSED_PAD src0_sel:WORD_1 src1_sel:DWORD
	s_waitcnt vmcnt(10)
	v_or_b32_sdwa v32, v13, v0 dst_sel:WORD_1 dst_unused:UNUSED_PAD src0_sel:BYTE_3 src1_sel:DWORD
	v_lshlrev_b16_sdwa v0, v5, v12 dst_sel:DWORD dst_unused:UNUSED_PAD src0_sel:DWORD src1_sel:WORD_1
	v_and_b32_sdwa v33, v13, s8 dst_sel:DWORD dst_unused:UNUSED_PAD src0_sel:WORD_1 src1_sel:DWORD
	v_or_b32_sdwa v33, v33, v0 dst_sel:WORD_1 dst_unused:UNUSED_PAD src0_sel:DWORD src1_sel:DWORD
	v_and_b32_e32 v0, 0xffffff00, v12
	v_or_b32_sdwa v38, v13, v0 dst_sel:WORD_1 dst_unused:UNUSED_PAD src0_sel:BYTE_1 src1_sel:DWORD
	s_waitcnt vmcnt(9)
	v_and_b32_sdwa v0, v16, s20 dst_sel:DWORD dst_unused:UNUSED_PAD src0_sel:WORD_1 src1_sel:DWORD
	s_waitcnt vmcnt(8)
	v_or_b32_sdwa v39, v17, v0 dst_sel:DWORD dst_unused:UNUSED_PAD src0_sel:BYTE_3 src1_sel:DWORD
	v_lshlrev_b16_sdwa v0, v5, v16 dst_sel:DWORD dst_unused:UNUSED_PAD src0_sel:DWORD src1_sel:WORD_1
	v_and_b32_sdwa v40, v17, s8 dst_sel:DWORD dst_unused:UNUSED_PAD src0_sel:WORD_1 src1_sel:DWORD
	v_or_b32_e32 v40, v40, v0
	v_and_b32_e32 v0, 0xffffff00, v16
	v_or_b32_sdwa v41, v17, v0 dst_sel:DWORD dst_unused:UNUSED_PAD src0_sel:BYTE_1 src1_sel:DWORD
	s_waitcnt vmcnt(7)
	v_and_b32_sdwa v0, v6, s8 dst_sel:DWORD dst_unused:UNUSED_PAD src0_sel:WORD_1 src1_sel:DWORD
	s_waitcnt vmcnt(6)
	v_lshlrev_b16_sdwa v43, v5, v18 dst_sel:DWORD dst_unused:UNUSED_PAD src0_sel:DWORD src1_sel:WORD_1
	v_or_b32_e32 v43, v0, v43
	v_and_b32_e32 v0, 0xffffff00, v18
	v_or_b32_sdwa v44, v6, v0 dst_sel:DWORD dst_unused:UNUSED_PAD src0_sel:BYTE_1 src1_sel:DWORD
	s_waitcnt vmcnt(5)
	v_and_b32_sdwa v0, v20, s8 dst_sel:DWORD dst_unused:UNUSED_PAD src0_sel:WORD_1 src1_sel:DWORD
	s_waitcnt vmcnt(4)
	v_lshlrev_b16_sdwa v46, v5, v21 dst_sel:DWORD dst_unused:UNUSED_PAD src0_sel:DWORD src1_sel:WORD_1
	v_or_b32_sdwa v46, v0, v46 dst_sel:WORD_1 dst_unused:UNUSED_PAD src0_sel:DWORD src1_sel:DWORD
	v_and_b32_e32 v0, 0xffffff00, v21
	v_or_b32_sdwa v47, v20, v0 dst_sel:WORD_1 dst_unused:UNUSED_PAD src0_sel:BYTE_1 src1_sel:DWORD
	s_waitcnt vmcnt(3)
	v_and_b32_sdwa v0, v23, s20 dst_sel:DWORD dst_unused:UNUSED_PAD src0_sel:WORD_1 src1_sel:DWORD
	s_waitcnt vmcnt(2)
	v_or_b32_sdwa v48, v24, v0 dst_sel:WORD_1 dst_unused:UNUSED_PAD src0_sel:BYTE_3 src1_sel:DWORD
	v_lshlrev_b16_sdwa v0, v5, v23 dst_sel:DWORD dst_unused:UNUSED_PAD src0_sel:DWORD src1_sel:WORD_1
	v_and_b32_sdwa v49, v24, s8 dst_sel:DWORD dst_unused:UNUSED_PAD src0_sel:WORD_1 src1_sel:DWORD
	v_or_b32_sdwa v49, v49, v0 dst_sel:WORD_1 dst_unused:UNUSED_PAD src0_sel:DWORD src1_sel:DWORD
	v_and_b32_e32 v0, 0xffffff00, v23
	v_or_b32_sdwa v50, v24, v0 dst_sel:WORD_1 dst_unused:UNUSED_PAD src0_sel:BYTE_1 src1_sel:DWORD
	s_waitcnt vmcnt(1)
	v_and_b32_sdwa v0, v27, s20 dst_sel:DWORD dst_unused:UNUSED_PAD src0_sel:WORD_1 src1_sel:DWORD
	s_waitcnt vmcnt(0)
	v_or_b32_sdwa v51, v28, v0 dst_sel:DWORD dst_unused:UNUSED_PAD src0_sel:BYTE_3 src1_sel:DWORD
	v_lshlrev_b16_sdwa v0, v5, v27 dst_sel:DWORD dst_unused:UNUSED_PAD src0_sel:DWORD src1_sel:WORD_1
	v_and_b32_sdwa v52, v28, s8 dst_sel:DWORD dst_unused:UNUSED_PAD src0_sel:WORD_1 src1_sel:DWORD
	v_or_b32_e32 v52, v52, v0
	v_and_b32_e32 v0, 0xffffff00, v27
	v_or_b32_sdwa v53, v28, v0 dst_sel:DWORD dst_unused:UNUSED_PAD src0_sel:BYTE_1 src1_sel:DWORD
	v_lshlrev_b16_e32 v0, 8, v7
	v_or_b32_sdwa v0, v3, v0 dst_sel:DWORD dst_unused:UNUSED_PAD src0_sel:BYTE_0 src1_sel:DWORD
	v_lshlrev_b16_e32 v3, 8, v10
	v_or_b32_sdwa v29, v9, v29 dst_sel:WORD_1 dst_unused:UNUSED_PAD src0_sel:BYTE_3 src1_sel:DWORD
	v_or_b32_sdwa v3, v9, v3 dst_sel:WORD_1 dst_unused:UNUSED_PAD src0_sel:BYTE_0 src1_sel:DWORD
	v_or_b32_sdwa v0, v0, v3 dst_sel:DWORD dst_unused:UNUSED_PAD src0_sel:WORD_0 src1_sel:DWORD
	v_or_b32_sdwa v1, v1, v31 dst_sel:DWORD dst_unused:UNUSED_PAD src0_sel:WORD_0 src1_sel:DWORD
	;; [unrolled: 1-line block ×4, first 2 shown]
	ds_write_b128 v37, v[0:3]
	v_lshlrev_b16_e32 v0, 8, v16
	v_lshlrev_b16_e32 v1, 8, v12
	v_or_b32_sdwa v0, v17, v0 dst_sel:DWORD dst_unused:UNUSED_PAD src0_sel:BYTE_0 src1_sel:DWORD
	v_or_b32_sdwa v1, v13, v1 dst_sel:WORD_1 dst_unused:UNUSED_PAD src0_sel:BYTE_0 src1_sel:DWORD
	v_or_b32_sdwa v0, v0, v1 dst_sel:DWORD dst_unused:UNUSED_PAD src0_sel:WORD_0 src1_sel:DWORD
	v_or_b32_sdwa v1, v41, v38 dst_sel:DWORD dst_unused:UNUSED_PAD src0_sel:WORD_0 src1_sel:DWORD
	;; [unrolled: 1-line block ×4, first 2 shown]
	v_and_b32_sdwa v42, v18, s20 dst_sel:DWORD dst_unused:UNUSED_PAD src0_sel:WORD_1 src1_sel:DWORD
	v_and_b32_sdwa v45, v21, s20 dst_sel:DWORD dst_unused:UNUSED_PAD src0_sel:WORD_1 src1_sel:DWORD
	ds_write_b128 v37, v[0:3] offset:512
	v_lshlrev_b16_e32 v0, 8, v18
	v_lshlrev_b16_e32 v1, 8, v21
	v_or_b32_sdwa v42, v6, v42 dst_sel:DWORD dst_unused:UNUSED_PAD src0_sel:BYTE_3 src1_sel:DWORD
	v_or_b32_sdwa v45, v20, v45 dst_sel:WORD_1 dst_unused:UNUSED_PAD src0_sel:BYTE_3 src1_sel:DWORD
	v_or_b32_sdwa v0, v6, v0 dst_sel:DWORD dst_unused:UNUSED_PAD src0_sel:BYTE_0 src1_sel:DWORD
	v_or_b32_sdwa v1, v20, v1 dst_sel:WORD_1 dst_unused:UNUSED_PAD src0_sel:BYTE_0 src1_sel:DWORD
	v_or_b32_sdwa v0, v0, v1 dst_sel:DWORD dst_unused:UNUSED_PAD src0_sel:WORD_0 src1_sel:DWORD
	v_or_b32_sdwa v1, v44, v47 dst_sel:DWORD dst_unused:UNUSED_PAD src0_sel:WORD_0 src1_sel:DWORD
	;; [unrolled: 1-line block ×4, first 2 shown]
	ds_write_b128 v37, v[0:3] offset:16384
	v_lshlrev_b16_e32 v0, 8, v27
	v_lshlrev_b16_e32 v1, 8, v23
	v_or_b32_sdwa v0, v28, v0 dst_sel:DWORD dst_unused:UNUSED_PAD src0_sel:BYTE_0 src1_sel:DWORD
	v_or_b32_sdwa v1, v24, v1 dst_sel:WORD_1 dst_unused:UNUSED_PAD src0_sel:BYTE_0 src1_sel:DWORD
	v_or_b32_sdwa v0, v0, v1 dst_sel:DWORD dst_unused:UNUSED_PAD src0_sel:WORD_0 src1_sel:DWORD
	v_or_b32_sdwa v1, v53, v50 dst_sel:DWORD dst_unused:UNUSED_PAD src0_sel:WORD_0 src1_sel:DWORD
	;; [unrolled: 1-line block ×4, first 2 shown]
	ds_write_b128 v37, v[0:3] offset:16896
	v_add_u32_e32 v0, s23, v15
	s_waitcnt lgkmcnt(0)
	s_barrier
	v_add_u32_e32 v1, s23, v14
	buffer_load_dword v39, v0, s[16:19], 0 offen
	buffer_load_dword v40, v1, s[16:19], 0 offen
	v_add_u32_e32 v0, s23, v11
	v_add_u32_e32 v1, s23, v8
	buffer_load_dword v44, v0, s[16:19], 0 offen
	buffer_load_dword v45, v1, s[16:19], 0 offen
	v_add_u32_e32 v0, s21, v1
	v_subrev_u32_e32 v1, s28, v0
	buffer_load_dword v42, v0, s[16:19], 0 offen
	buffer_load_dword v43, v1, s[16:19], 0 offen
	v_subrev_u32_e32 v0, s28, v1
	v_subrev_u32_e32 v1, s28, v0
	buffer_load_dword v49, v0, s[16:19], 0 offen
	buffer_load_dword v50, v1, s[16:19], 0 offen
	s_mul_i32 s16, s9, 60
	v_add_u32_e32 v0, s16, v26
	buffer_load_dword v38, v0, s[4:7], 0 offen
	v_add_u32_e32 v0, s16, v25
	buffer_load_dword v47, v0, s[4:7], 0 offen
	v_add_u32_e32 v0, s16, v22
	buffer_load_dword v41, v0, s[4:7], 0 offen
	v_add_u32_e32 v0, s16, v19
	buffer_load_dword v51, v0, s[4:7], 0 offen
	v_add_u32_e32 v0, s22, v0
	v_subrev_u32_e32 v1, s9, v0
	buffer_load_dword v48, v0, s[4:7], 0 offen
	buffer_load_dword v46, v1, s[4:7], 0 offen
	v_subrev_u32_e32 v0, s9, v1
	v_subrev_u32_e32 v1, s9, v0
	buffer_load_dword v53, v0, s[4:7], 0 offen
	buffer_load_dword v52, v1, s[4:7], 0 offen
	buffer_load_dword v4, off, s[0:3], 0 offset:80
	buffer_load_dword v12, off, s[0:3], 0 offset:112
	;; [unrolled: 1-line block ×34, first 2 shown]
	s_mov_b64 s[6:7], src_private_base
	s_waitcnt vmcnt(49)
	v_and_b32_sdwa v0, v39, s8 dst_sel:DWORD dst_unused:UNUSED_PAD src0_sel:WORD_1 src1_sel:DWORD
	s_waitcnt vmcnt(48)
	v_and_b32_sdwa v1, v40, s20 dst_sel:DWORD dst_unused:UNUSED_PAD src0_sel:WORD_1 src1_sel:DWORD
	v_or_b32_sdwa v54, v39, v1 dst_sel:DWORD dst_unused:UNUSED_PAD src0_sel:BYTE_3 src1_sel:DWORD
	v_lshlrev_b16_sdwa v1, v5, v40 dst_sel:DWORD dst_unused:UNUSED_PAD src0_sel:DWORD src1_sel:WORD_1
	v_or_b32_e32 v55, v0, v1
	v_and_b32_e32 v0, 0xffffff00, v40
	s_waitcnt vmcnt(46)
	v_and_b32_sdwa v1, v45, s20 dst_sel:DWORD dst_unused:UNUSED_PAD src0_sel:WORD_1 src1_sel:DWORD
	v_or_b32_sdwa v60, v39, v0 dst_sel:DWORD dst_unused:UNUSED_PAD src0_sel:BYTE_1 src1_sel:DWORD
	v_and_b32_sdwa v0, v44, s8 dst_sel:DWORD dst_unused:UNUSED_PAD src0_sel:WORD_1 src1_sel:DWORD
	v_or_b32_sdwa v61, v44, v1 dst_sel:WORD_1 dst_unused:UNUSED_PAD src0_sel:BYTE_3 src1_sel:DWORD
	v_lshlrev_b16_sdwa v1, v5, v45 dst_sel:DWORD dst_unused:UNUSED_PAD src0_sel:DWORD src1_sel:WORD_1
	v_or_b32_sdwa v63, v0, v1 dst_sel:WORD_1 dst_unused:UNUSED_PAD src0_sel:DWORD src1_sel:DWORD
	v_and_b32_e32 v0, 0xffffff00, v45
	v_or_b32_sdwa v65, v44, v0 dst_sel:WORD_1 dst_unused:UNUSED_PAD src0_sel:BYTE_1 src1_sel:DWORD
	s_waitcnt vmcnt(45)
	v_and_b32_sdwa v0, v42, s20 dst_sel:DWORD dst_unused:UNUSED_PAD src0_sel:WORD_1 src1_sel:DWORD
	s_waitcnt vmcnt(44)
	v_or_b32_sdwa v56, v43, v0 dst_sel:WORD_1 dst_unused:UNUSED_PAD src0_sel:BYTE_3 src1_sel:DWORD
	v_lshlrev_b16_sdwa v0, v5, v42 dst_sel:DWORD dst_unused:UNUSED_PAD src0_sel:DWORD src1_sel:WORD_1
	v_and_b32_sdwa v1, v43, s8 dst_sel:DWORD dst_unused:UNUSED_PAD src0_sel:WORD_1 src1_sel:DWORD
	v_or_b32_sdwa v57, v1, v0 dst_sel:WORD_1 dst_unused:UNUSED_PAD src0_sel:DWORD src1_sel:DWORD
	v_and_b32_e32 v0, 0xffffff00, v42
	v_or_b32_sdwa v59, v43, v0 dst_sel:WORD_1 dst_unused:UNUSED_PAD src0_sel:BYTE_1 src1_sel:DWORD
	s_waitcnt vmcnt(43)
	v_and_b32_sdwa v0, v49, s20 dst_sel:DWORD dst_unused:UNUSED_PAD src0_sel:WORD_1 src1_sel:DWORD
	s_waitcnt vmcnt(42)
	v_or_b32_sdwa v58, v50, v0 dst_sel:DWORD dst_unused:UNUSED_PAD src0_sel:BYTE_3 src1_sel:DWORD
	v_lshlrev_b16_sdwa v0, v5, v49 dst_sel:DWORD dst_unused:UNUSED_PAD src0_sel:DWORD src1_sel:WORD_1
	v_and_b32_sdwa v1, v50, s8 dst_sel:DWORD dst_unused:UNUSED_PAD src0_sel:WORD_1 src1_sel:DWORD
	v_or_b32_e32 v62, v1, v0
	v_and_b32_e32 v0, 0xffffff00, v49
	s_waitcnt vmcnt(40)
	v_and_b32_sdwa v1, v47, s20 dst_sel:DWORD dst_unused:UNUSED_PAD src0_sel:WORD_1 src1_sel:DWORD
	v_or_b32_sdwa v64, v50, v0 dst_sel:DWORD dst_unused:UNUSED_PAD src0_sel:BYTE_1 src1_sel:DWORD
	v_and_b32_sdwa v0, v38, s8 dst_sel:DWORD dst_unused:UNUSED_PAD src0_sel:WORD_1 src1_sel:DWORD
	v_or_b32_sdwa v66, v38, v1 dst_sel:DWORD dst_unused:UNUSED_PAD src0_sel:BYTE_3 src1_sel:DWORD
	v_lshlrev_b16_sdwa v1, v5, v47 dst_sel:DWORD dst_unused:UNUSED_PAD src0_sel:DWORD src1_sel:WORD_1
	v_or_b32_e32 v67, v0, v1
	v_and_b32_e32 v0, 0xffffff00, v47
	s_waitcnt vmcnt(38)
	v_and_b32_sdwa v1, v51, s20 dst_sel:DWORD dst_unused:UNUSED_PAD src0_sel:WORD_1 src1_sel:DWORD
	v_or_b32_sdwa v68, v38, v0 dst_sel:DWORD dst_unused:UNUSED_PAD src0_sel:BYTE_1 src1_sel:DWORD
	v_and_b32_sdwa v0, v41, s8 dst_sel:DWORD dst_unused:UNUSED_PAD src0_sel:WORD_1 src1_sel:DWORD
	v_or_b32_sdwa v71, v41, v1 dst_sel:WORD_1 dst_unused:UNUSED_PAD src0_sel:BYTE_3 src1_sel:DWORD
	v_lshlrev_b16_sdwa v1, v5, v51 dst_sel:DWORD dst_unused:UNUSED_PAD src0_sel:DWORD src1_sel:WORD_1
	v_or_b32_sdwa v73, v0, v1 dst_sel:WORD_1 dst_unused:UNUSED_PAD src0_sel:DWORD src1_sel:DWORD
	v_and_b32_e32 v0, 0xffffff00, v51
	v_or_b32_sdwa v74, v41, v0 dst_sel:WORD_1 dst_unused:UNUSED_PAD src0_sel:BYTE_1 src1_sel:DWORD
	s_waitcnt vmcnt(37)
	v_and_b32_sdwa v0, v48, s20 dst_sel:DWORD dst_unused:UNUSED_PAD src0_sel:WORD_1 src1_sel:DWORD
	s_waitcnt vmcnt(36)
	v_or_b32_sdwa v75, v46, v0 dst_sel:WORD_1 dst_unused:UNUSED_PAD src0_sel:BYTE_3 src1_sel:DWORD
	v_lshlrev_b16_sdwa v0, v5, v48 dst_sel:DWORD dst_unused:UNUSED_PAD src0_sel:DWORD src1_sel:WORD_1
	v_and_b32_sdwa v1, v46, s8 dst_sel:DWORD dst_unused:UNUSED_PAD src0_sel:WORD_1 src1_sel:DWORD
	v_or_b32_sdwa v77, v1, v0 dst_sel:WORD_1 dst_unused:UNUSED_PAD src0_sel:DWORD src1_sel:DWORD
	v_and_b32_e32 v0, 0xffffff00, v48
	v_or_b32_sdwa v78, v46, v0 dst_sel:WORD_1 dst_unused:UNUSED_PAD src0_sel:BYTE_1 src1_sel:DWORD
	s_waitcnt vmcnt(35)
	v_and_b32_sdwa v0, v53, s20 dst_sel:DWORD dst_unused:UNUSED_PAD src0_sel:WORD_1 src1_sel:DWORD
	s_waitcnt vmcnt(34)
	v_or_b32_sdwa v83, v52, v0 dst_sel:DWORD dst_unused:UNUSED_PAD src0_sel:BYTE_3 src1_sel:DWORD
	v_lshlrev_b16_sdwa v0, v5, v53 dst_sel:DWORD dst_unused:UNUSED_PAD src0_sel:DWORD src1_sel:WORD_1
	v_and_b32_sdwa v1, v52, s8 dst_sel:DWORD dst_unused:UNUSED_PAD src0_sel:WORD_1 src1_sel:DWORD
	v_or_b32_e32 v88, v1, v0
	s_waitcnt vmcnt(33)
	ds_read_b128 v[0:3], v4
	s_waitcnt vmcnt(32)
	ds_read_b128 v[8:11], v12 offset:16384
	v_and_b32_e32 v5, 0xffffff00, v53
	v_or_b32_sdwa v89, v52, v5 dst_sel:DWORD dst_unused:UNUSED_PAD src0_sel:BYTE_1 src1_sel:DWORD
	ds_read_b128 v[4:7], v4 offset:256
	s_waitcnt lgkmcnt(2)
	buffer_store_dword v0, off, s[0:3], 0
	buffer_store_dword v1, off, s[0:3], 0 offset:4
	buffer_store_dword v2, off, s[0:3], 0 offset:8
	;; [unrolled: 1-line block ×3, first 2 shown]
	ds_read_b128 v[12:15], v12 offset:16640
	s_waitcnt lgkmcnt(2)
	buffer_store_dword v8, off, s[0:3], 0 offset:32
	buffer_store_dword v9, off, s[0:3], 0 offset:36
	;; [unrolled: 1-line block ×4, first 2 shown]
	s_waitcnt lgkmcnt(0)
	buffer_store_dword v12, off, s[0:3], 0 offset:48
	buffer_store_dword v13, off, s[0:3], 0 offset:52
	;; [unrolled: 1-line block ×8, first 2 shown]
	s_waitcnt vmcnt(47)
	v_dot4c_i32_i8_e32 v16, v0, v8
	s_waitcnt vmcnt(46)
	v_dot4c_i32_i8_e32 v17, v0, v9
	s_waitcnt vmcnt(45)
	v_dot4c_i32_i8_e32 v18, v0, v10
	s_waitcnt vmcnt(41)
	v_dot4c_i32_i8_e32 v22, v0, v11
	s_waitcnt vmcnt(40)
	v_dot4c_i32_i8_e32 v23, v1, v8
	s_waitcnt vmcnt(39)
	v_dot4c_i32_i8_e32 v24, v1, v9
	s_waitcnt vmcnt(38)
	v_dot4c_i32_i8_e32 v25, v1, v10
	s_waitcnt vmcnt(35)
	v_dot4c_i32_i8_e32 v28, v1, v11
	s_waitcnt vmcnt(34)
	v_dot4c_i32_i8_e32 v29, v2, v8
	s_waitcnt vmcnt(33)
	v_dot4c_i32_i8_e32 v30, v2, v9
	s_waitcnt vmcnt(32)
	v_dot4c_i32_i8_e32 v31, v2, v10
	s_waitcnt vmcnt(31)
	v_dot4c_i32_i8_e32 v32, v2, v11
	s_waitcnt vmcnt(30)
	v_dot4c_i32_i8_e32 v33, v3, v8
	s_waitcnt vmcnt(29)
	v_dot4c_i32_i8_e32 v69, v3, v9
	s_waitcnt vmcnt(28)
	v_dot4c_i32_i8_e32 v70, v3, v10
	s_waitcnt vmcnt(27)
	v_dot4c_i32_i8_e32 v72, v3, v11
	v_dot4c_i32_i8_e32 v19, v0, v12
	v_dot4c_i32_i8_e32 v20, v0, v13
	;; [unrolled: 1-line block ×3, first 2 shown]
	s_waitcnt vmcnt(26)
	v_dot4c_i32_i8_e32 v76, v0, v15
	v_dot4c_i32_i8_e32 v26, v1, v12
	v_dot4c_i32_i8_e32 v27, v1, v13
	s_waitcnt vmcnt(25)
	v_dot4c_i32_i8_e32 v79, v1, v14
	s_waitcnt vmcnt(22)
	v_dot4c_i32_i8_e32 v82, v1, v15
	v_dot4c_i32_i8_e32 v80, v2, v12
	v_dot4c_i32_i8_e32 v81, v2, v13
	s_waitcnt vmcnt(21)
	v_dot4c_i32_i8_e32 v84, v2, v14
	;; [unrolled: 6-line block ×3, first 2 shown]
	s_waitcnt vmcnt(16)
	v_dot4c_i32_i8_e32 v91, v3, v15
	v_mov_b32_e32 v0, 64
	v_mov_b32_e32 v1, s7
	;; [unrolled: 1-line block ×12, first 2 shown]
	buffer_store_dword v16, off, s[0:3], 0 offset:144
	buffer_store_dword v17, off, s[0:3], 0 offset:148
	;; [unrolled: 1-line block ×32, first 2 shown]
	s_getpc_b64 s[8:9]
	s_add_u32 s8, s8, _ZNK2ck6detail15static_for_implINS_8SequenceIJLi1ELi2ELi3ELi4ELi5ELi6ELi7ELi8ELi9ELi10ELi11ELi12ELi13ELi14ELi15EEEEEclIZNKS_80BlockwiseGemmDl_A_BK0_BM_BK1_B_BK0_BN_BK1_C_BM0_BM1_BN0_BN1_pipeline_BM0_2_BN0_2ILi256EaaiKNS_16TensorDescriptorINS_5TupleIJNS_5EmbedINS8_IJNS_17integral_constantIiLi16EEENSA_IiLi128EEENSA_IiLi4EEEEEENS8_IJNSA_IiLi512EEESD_NSA_IiLi1EEEEEELb0EEEEEENS8_IJNS2_IJLi0EEEEEEENS8_IJNS2_IJLi1ELi2ELi3EEEEEEESM_NSA_IlLl8192EEEEESQ_Li4ELi4ELi1ENS2_IJLi8ELi2EEEESR_Li4ELi4ELb0EE3RunINS7_INS8_IJNS_7UnMergeINS8_IJNSA_IiLi2EEESD_SV_SD_EEELb0EEEEEESL_NS8_IJNS2_IJLi1ELi2ELi3ELi4EEEEEEESZ_NSA_IlLl64EEEEENS_13DynamicBufferILNS_16AddressSpaceEnumE2EaSO_Lb1ELNS_22AmdBufferCoherenceEnumE0EiEES16_NS_12StaticBufferILS14_4EiLi64ELb1EEEEEvRKT_RKT0_RKT1_RT2_EUlS19_E_EEvS19_@rel32@lo+4
	s_addc_u32 s9, s9, _ZNK2ck6detail15static_for_implINS_8SequenceIJLi1ELi2ELi3ELi4ELi5ELi6ELi7ELi8ELi9ELi10ELi11ELi12ELi13ELi14ELi15EEEEEclIZNKS_80BlockwiseGemmDl_A_BK0_BM_BK1_B_BK0_BN_BK1_C_BM0_BM1_BN0_BN1_pipeline_BM0_2_BN0_2ILi256EaaiKNS_16TensorDescriptorINS_5TupleIJNS_5EmbedINS8_IJNS_17integral_constantIiLi16EEENSA_IiLi128EEENSA_IiLi4EEEEEENS8_IJNSA_IiLi512EEESD_NSA_IiLi1EEEEEELb0EEEEEENS8_IJNS2_IJLi0EEEEEEENS8_IJNS2_IJLi1ELi2ELi3EEEEEEESM_NSA_IlLl8192EEEEESQ_Li4ELi4ELi1ENS2_IJLi8ELi2EEEESR_Li4ELi4ELb0EE3RunINS7_INS8_IJNS_7UnMergeINS8_IJNSA_IiLi2EEESD_SV_SD_EEELb0EEEEEESL_NS8_IJNS2_IJLi1ELi2ELi3ELi4EEEEEEESZ_NSA_IlLl64EEEEENS_13DynamicBufferILNS_16AddressSpaceEnumE2EaSO_Lb1ELNS_22AmdBufferCoherenceEnumE0EiEES16_NS_12StaticBufferILS14_4EiLi64ELb1EEEEEvRKT_RKT0_RKT1_RT2_EUlS19_E_EEvS19_@rel32@hi+12
	s_swappc_b64 s[30:31], s[8:9]
	buffer_load_dword v0, off, s[0:3], 0 offset:32
	buffer_load_dword v1, off, s[0:3], 0 offset:36
	buffer_load_dword v2, off, s[0:3], 0 offset:40
	buffer_load_dword v3, off, s[0:3], 0 offset:44
	buffer_load_dword v4, off, s[0:3], 0 offset:16
	buffer_load_dword v5, off, s[0:3], 0 offset:20
	buffer_load_dword v6, off, s[0:3], 0 offset:272
	buffer_load_dword v7, off, s[0:3], 0 offset:276
	buffer_load_dword v8, off, s[0:3], 0 offset:280
	buffer_load_dword v9, off, s[0:3], 0 offset:284
	buffer_load_dword v10, off, s[0:3], 0 offset:304
	buffer_load_dword v11, off, s[0:3], 0 offset:308
	buffer_load_dword v12, off, s[0:3], 0 offset:312
	buffer_load_dword v13, off, s[0:3], 0 offset:316
	buffer_load_dword v14, off, s[0:3], 0 offset:24
	buffer_load_dword v15, off, s[0:3], 0 offset:336
	buffer_load_dword v16, off, s[0:3], 0 offset:340
	buffer_load_dword v17, off, s[0:3], 0 offset:344
	buffer_load_dword v18, off, s[0:3], 0 offset:348
	buffer_load_dword v19, off, s[0:3], 0 offset:28
	buffer_load_dword v20, off, s[0:3], 0 offset:368
	buffer_load_dword v21, off, s[0:3], 0 offset:372
	buffer_load_dword v22, off, s[0:3], 0 offset:376
	buffer_load_dword v23, off, s[0:3], 0 offset:380
	buffer_load_dword v24, off, s[0:3], 0 offset:48
	buffer_load_dword v25, off, s[0:3], 0 offset:60
	buffer_load_dword v26, off, s[0:3], 0 offset:56
	buffer_load_dword v27, off, s[0:3], 0 offset:52
	buffer_load_dword v28, off, s[0:3], 0 offset:288
	buffer_load_dword v29, off, s[0:3], 0 offset:292
	buffer_load_dword v30, off, s[0:3], 0 offset:296
	buffer_load_dword v31, off, s[0:3], 0 offset:300
	buffer_load_dword v32, off, s[0:3], 0 offset:320
	buffer_load_dword v33, off, s[0:3], 0 offset:324
	buffer_load_dword v69, off, s[0:3], 0 offset:328
	buffer_load_dword v70, off, s[0:3], 0 offset:332
	buffer_load_dword v72, off, s[0:3], 0 offset:352
	buffer_load_dword v76, off, s[0:3], 0 offset:356
	buffer_load_dword v79, off, s[0:3], 0 offset:360
	buffer_load_dword v80, off, s[0:3], 0 offset:364
	buffer_load_dword v81, off, s[0:3], 0 offset:384
	buffer_load_dword v82, off, s[0:3], 0 offset:388
	buffer_load_dword v84, off, s[0:3], 0 offset:392
	buffer_load_dword v85, off, s[0:3], 0 offset:396
	buffer_load_dword v86, off, s[0:3], 0 offset:436
	buffer_load_dword v87, off, s[0:3], 0 offset:432
	s_waitcnt vmcnt(39)
	v_dot4c_i32_i8_e32 v6, v4, v0
	s_waitcnt vmcnt(38)
	v_dot4c_i32_i8_e32 v7, v4, v1
	;; [unrolled: 2-line block ×14, first 2 shown]
	v_lshlrev_b16_e32 v0, 8, v40
	v_lshlrev_b16_e32 v1, 8, v45
	v_or_b32_sdwa v0, v39, v0 dst_sel:DWORD dst_unused:UNUSED_PAD src0_sel:BYTE_0 src1_sel:DWORD
	v_or_b32_sdwa v1, v44, v1 dst_sel:WORD_1 dst_unused:UNUSED_PAD src0_sel:BYTE_0 src1_sel:DWORD
	s_waitcnt vmcnt(23)
	v_dot4c_i32_i8_e32 v22, v19, v2
	s_waitcnt vmcnt(22)
	v_dot4c_i32_i8_e32 v23, v19, v3
	;; [unrolled: 2-line block ×18, first 2 shown]
	v_or_b32_sdwa v0, v0, v1 dst_sel:DWORD dst_unused:UNUSED_PAD src0_sel:WORD_0 src1_sel:DWORD
	s_waitcnt vmcnt(0)
	v_add_co_u32_e32 v4, vcc, v87, v37
	v_or_b32_sdwa v1, v60, v65 dst_sel:DWORD dst_unused:UNUSED_PAD src0_sel:WORD_0 src1_sel:DWORD
	v_or_b32_sdwa v2, v55, v63 dst_sel:DWORD dst_unused:UNUSED_PAD src0_sel:WORD_0 src1_sel:DWORD
	;; [unrolled: 1-line block ×3, first 2 shown]
	v_addc_co_u32_e32 v5, vcc, 0, v86, vcc
	buffer_store_dword v6, off, s[0:3], 0 offset:272
	buffer_store_dword v7, off, s[0:3], 0 offset:276
	;; [unrolled: 1-line block ×32, first 2 shown]
	flat_store_dwordx4 v[4:5], v[0:3]
	v_lshlrev_b16_e32 v8, 8, v53
	v_lshlrev_b16_e32 v0, 8, v49
	;; [unrolled: 1-line block ×3, first 2 shown]
	v_or_b32_sdwa v0, v50, v0 dst_sel:DWORD dst_unused:UNUSED_PAD src0_sel:BYTE_0 src1_sel:DWORD
	v_or_b32_sdwa v1, v43, v1 dst_sel:WORD_1 dst_unused:UNUSED_PAD src0_sel:BYTE_0 src1_sel:DWORD
	v_or_b32_sdwa v0, v0, v1 dst_sel:DWORD dst_unused:UNUSED_PAD src0_sel:WORD_0 src1_sel:DWORD
	v_or_b32_sdwa v1, v64, v59 dst_sel:DWORD dst_unused:UNUSED_PAD src0_sel:WORD_0 src1_sel:DWORD
	;; [unrolled: 1-line block ×4, first 2 shown]
	flat_store_dwordx4 v[4:5], v[0:3] offset:512
	buffer_load_dword v10, off, s[0:3], 0 offset:448
	buffer_load_dword v11, off, s[0:3], 0 offset:452
	v_lshlrev_b16_e32 v0, 8, v47
	v_lshlrev_b16_e32 v4, 8, v51
	;; [unrolled: 1-line block ×3, first 2 shown]
	v_or_b32_sdwa v0, v38, v0 dst_sel:DWORD dst_unused:UNUSED_PAD src0_sel:BYTE_0 src1_sel:DWORD
	v_or_b32_sdwa v4, v41, v4 dst_sel:WORD_1 dst_unused:UNUSED_PAD src0_sel:BYTE_0 src1_sel:DWORD
	v_or_b32_sdwa v8, v52, v8 dst_sel:DWORD dst_unused:UNUSED_PAD src0_sel:BYTE_0 src1_sel:DWORD
	v_or_b32_sdwa v9, v46, v9 dst_sel:WORD_1 dst_unused:UNUSED_PAD src0_sel:BYTE_0 src1_sel:DWORD
	v_or_b32_sdwa v0, v0, v4 dst_sel:DWORD dst_unused:UNUSED_PAD src0_sel:WORD_0 src1_sel:DWORD
	v_or_b32_sdwa v4, v8, v9 dst_sel:DWORD dst_unused:UNUSED_PAD src0_sel:WORD_0 src1_sel:DWORD
	;; [unrolled: 1-line block ×8, first 2 shown]
	s_waitcnt vmcnt(0)
	v_add_co_u32_e32 v8, vcc, v10, v37
	v_addc_co_u32_e32 v9, vcc, 0, v11, vcc
	flat_store_dwordx4 v[8:9], v[0:3]
	flat_store_dwordx4 v[8:9], v[4:7] offset:512
	s_waitcnt lgkmcnt(0)
	s_barrier
	buffer_load_dword v0, off, s[0:3], 0 offset:80
	s_nop 0
	buffer_store_dword v36, off, s[0:3], 0
	buffer_store_dword v36, off, s[0:3], 0 offset:4
	buffer_store_dword v36, off, s[0:3], 0 offset:8
	;; [unrolled: 1-line block ×15, first 2 shown]
	buffer_load_dword v4, off, s[0:3], 0 offset:112
	buffer_load_dword v16, off, s[0:3], 0 offset:160
	;; [unrolled: 1-line block ×5, first 2 shown]
	s_waitcnt vmcnt(0)
	v_ashrrev_i32_e32 v5, 31, v4
	v_ashrrev_i32_e32 v1, 31, v0
	v_add_co_u32_e32 v12, vcc, v87, v0
	v_addc_co_u32_e32 v13, vcc, v86, v1, vcc
	flat_load_dwordx4 v[0:3], v[12:13]
	v_add_co_u32_e32 v8, vcc, v10, v4
	buffer_load_dword v20, off, s[0:3], 0 offset:192
	buffer_load_dword v21, off, s[0:3], 0 offset:196
	;; [unrolled: 1-line block ×3, first 2 shown]
	v_addc_co_u32_e32 v9, vcc, v11, v5, vcc
	s_waitcnt vmcnt(0) lgkmcnt(0)
	buffer_store_dword v0, off, s[0:3], 0
	buffer_store_dword v1, off, s[0:3], 0 offset:4
	buffer_store_dword v2, off, s[0:3], 0 offset:8
	;; [unrolled: 1-line block ×3, first 2 shown]
	flat_load_dwordx4 v[4:7], v[8:9]
	s_waitcnt vmcnt(0) lgkmcnt(0)
	buffer_store_dword v4, off, s[0:3], 0 offset:32
	buffer_store_dword v5, off, s[0:3], 0 offset:36
	;; [unrolled: 1-line block ×4, first 2 shown]
	flat_load_dwordx4 v[8:11], v[8:9] offset:256
	s_nop 0
	buffer_load_dword v23, off, s[0:3], 0 offset:144
	buffer_load_dword v24, off, s[0:3], 0 offset:148
	;; [unrolled: 1-line block ×25, first 2 shown]
	v_dot4c_i32_i8_e32 v19, v0, v7
	v_dot4c_i32_i8_e32 v22, v1, v7
	s_waitcnt vmcnt(0) lgkmcnt(0)
	buffer_store_dword v8, off, s[0:3], 0 offset:48
	buffer_store_dword v9, off, s[0:3], 0 offset:52
	buffer_store_dword v10, off, s[0:3], 0 offset:56
	buffer_store_dword v11, off, s[0:3], 0 offset:60
	flat_load_dwordx4 v[12:15], v[12:13] offset:256
	v_dot4c_i32_i8_e32 v23, v0, v4
	v_dot4c_i32_i8_e32 v24, v0, v5
	;; [unrolled: 1-line block ×30, first 2 shown]
	v_mov_b32_e32 v0, 64
	v_mov_b32_e32 v1, s7
	;; [unrolled: 1-line block ×12, first 2 shown]
	buffer_store_dword v23, off, s[0:3], 0 offset:144
	buffer_store_dword v24, off, s[0:3], 0 offset:148
	;; [unrolled: 1-line block ×32, first 2 shown]
	s_waitcnt vmcnt(0) lgkmcnt(0)
	buffer_store_dword v12, off, s[0:3], 0 offset:16
	buffer_store_dword v13, off, s[0:3], 0 offset:20
	;; [unrolled: 1-line block ×4, first 2 shown]
	s_swappc_b64 s[30:31], s[8:9]
	buffer_load_dword v0, off, s[0:3], 0 offset:32
	buffer_load_dword v1, off, s[0:3], 0 offset:36
	buffer_load_dword v2, off, s[0:3], 0 offset:40
	buffer_load_dword v3, off, s[0:3], 0 offset:44
	buffer_load_dword v4, off, s[0:3], 0 offset:16
	buffer_load_dword v5, off, s[0:3], 0 offset:20
	buffer_load_dword v6, off, s[0:3], 0 offset:272
	buffer_load_dword v7, off, s[0:3], 0 offset:276
	buffer_load_dword v8, off, s[0:3], 0 offset:280
	buffer_load_dword v9, off, s[0:3], 0 offset:284
	buffer_load_dword v10, off, s[0:3], 0 offset:304
	buffer_load_dword v11, off, s[0:3], 0 offset:308
	buffer_load_dword v12, off, s[0:3], 0 offset:312
	buffer_load_dword v13, off, s[0:3], 0 offset:316
	buffer_load_dword v14, off, s[0:3], 0 offset:24
	buffer_load_dword v15, off, s[0:3], 0 offset:336
	buffer_load_dword v16, off, s[0:3], 0 offset:340
	buffer_load_dword v17, off, s[0:3], 0 offset:344
	buffer_load_dword v18, off, s[0:3], 0 offset:348
	buffer_load_dword v19, off, s[0:3], 0 offset:368
	buffer_load_dword v20, off, s[0:3], 0 offset:372
	buffer_load_dword v21, off, s[0:3], 0 offset:376
	buffer_load_dword v22, off, s[0:3], 0 offset:380
	buffer_load_dword v23, off, s[0:3], 0 offset:60
	buffer_load_dword v24, off, s[0:3], 0 offset:28
	buffer_load_dword v25, off, s[0:3], 0 offset:56
	buffer_load_dword v26, off, s[0:3], 0 offset:52
	buffer_load_dword v27, off, s[0:3], 0 offset:48
	buffer_load_dword v28, off, s[0:3], 0 offset:288
	buffer_load_dword v29, off, s[0:3], 0 offset:292
	buffer_load_dword v30, off, s[0:3], 0 offset:296
	buffer_load_dword v31, off, s[0:3], 0 offset:300
	buffer_load_dword v32, off, s[0:3], 0 offset:320
	buffer_load_dword v33, off, s[0:3], 0 offset:324
	buffer_load_dword v36, off, s[0:3], 0 offset:328
	buffer_load_dword v37, off, s[0:3], 0 offset:332
	buffer_load_dword v38, off, s[0:3], 0 offset:352
	buffer_load_dword v39, off, s[0:3], 0 offset:356
	buffer_load_dword v40, off, s[0:3], 0 offset:360
	buffer_load_dword v41, off, s[0:3], 0 offset:364
	buffer_load_dword v42, off, s[0:3], 0 offset:384
	buffer_load_dword v43, off, s[0:3], 0 offset:388
	buffer_load_dword v44, off, s[0:3], 0 offset:392
	buffer_load_dword v45, off, s[0:3], 0 offset:396
	buffer_load_dword v46, off, s[0:3], 0 offset:156
	buffer_load_dword v47, off, s[0:3], 0 offset:152
	buffer_load_dword v48, off, s[0:3], 0 offset:148
	buffer_load_dword v49, off, s[0:3], 0 offset:144
	s_mov_b32 s4, 0xc0c0500
	s_lshl_b32 s5, s10, 6
	s_waitcnt vmcnt(41)
	v_dot4c_i32_i8_e32 v6, v4, v0
	s_waitcnt vmcnt(40)
	v_dot4c_i32_i8_e32 v7, v4, v1
	;; [unrolled: 2-line block ×13, first 2 shown]
	v_dot4c_i32_i8_e32 v20, v24, v1
	v_dot4c_i32_i8_e32 v21, v24, v2
	v_add_u32_e32 v0, s11, v35
	v_dot4c_i32_i8_e32 v22, v24, v3
	v_mul_lo_u32 v0, v0, s10
	s_waitcnt vmcnt(18)
	v_dot4c_i32_i8_e32 v29, v4, v26
	s_waitcnt vmcnt(17)
	v_dot4c_i32_i8_e32 v30, v4, v25
	;; [unrolled: 2-line block ×14, first 2 shown]
	s_waitcnt vmcnt(3)
	v_lshlrev_b32_e32 v3, 24, v46
	s_waitcnt vmcnt(2)
	v_lshlrev_b32_e32 v2, 16, v47
	;; [unrolled: 2-line block ×3, first 2 shown]
	v_and_b32_e32 v2, 0xff0000, v2
	s_waitcnt vmcnt(0)
	v_perm_b32 v1, v1, v49, s4
	v_dot4c_i32_i8_e32 v45, v24, v23
	v_add3_u32 v0, s15, v34, v0
	v_or3_b32 v1, v1, v2, v3
	s_mov_b32 s15, s19
	v_dot4c_i32_i8_e32 v28, v4, v27
	buffer_store_dword v6, off, s[0:3], 0 offset:272
	buffer_store_dword v7, off, s[0:3], 0 offset:276
	buffer_store_dword v8, off, s[0:3], 0 offset:280
	buffer_store_dword v9, off, s[0:3], 0 offset:284
	buffer_store_dword v10, off, s[0:3], 0 offset:304
	buffer_store_dword v11, off, s[0:3], 0 offset:308
	buffer_store_dword v12, off, s[0:3], 0 offset:312
	buffer_store_dword v13, off, s[0:3], 0 offset:316
	buffer_store_dword v15, off, s[0:3], 0 offset:336
	buffer_store_dword v16, off, s[0:3], 0 offset:340
	buffer_store_dword v17, off, s[0:3], 0 offset:344
	buffer_store_dword v18, off, s[0:3], 0 offset:348
	buffer_store_dword v19, off, s[0:3], 0 offset:368
	buffer_store_dword v20, off, s[0:3], 0 offset:372
	buffer_store_dword v21, off, s[0:3], 0 offset:376
	buffer_store_dword v22, off, s[0:3], 0 offset:380
	buffer_store_dword v28, off, s[0:3], 0 offset:288
	buffer_store_dword v29, off, s[0:3], 0 offset:292
	buffer_store_dword v30, off, s[0:3], 0 offset:296
	buffer_store_dword v31, off, s[0:3], 0 offset:300
	buffer_store_dword v32, off, s[0:3], 0 offset:320
	buffer_store_dword v33, off, s[0:3], 0 offset:324
	buffer_store_dword v36, off, s[0:3], 0 offset:328
	buffer_store_dword v37, off, s[0:3], 0 offset:332
	buffer_store_dword v38, off, s[0:3], 0 offset:352
	buffer_store_dword v39, off, s[0:3], 0 offset:356
	buffer_store_dword v40, off, s[0:3], 0 offset:360
	buffer_store_dword v41, off, s[0:3], 0 offset:364
	buffer_store_dword v42, off, s[0:3], 0 offset:384
	buffer_store_dword v43, off, s[0:3], 0 offset:388
	buffer_store_dword v44, off, s[0:3], 0 offset:392
	buffer_store_dword v45, off, s[0:3], 0 offset:396
	buffer_store_dword v1, v0, s[12:15], 0 offen
	buffer_load_dword v1, off, s[0:3], 0 offset:164
	s_nop 0
	buffer_load_dword v2, off, s[0:3], 0 offset:168
	buffer_load_dword v3, off, s[0:3], 0 offset:172
	;; [unrolled: 1-line block ×3, first 2 shown]
	s_waitcnt vmcnt(3)
	v_lshlrev_b32_e32 v1, 8, v1
	s_waitcnt vmcnt(2)
	v_lshlrev_b32_e32 v2, 16, v2
	;; [unrolled: 2-line block ×3, first 2 shown]
	v_and_b32_e32 v2, 0xff0000, v2
	s_waitcnt vmcnt(0)
	v_perm_b32 v1, v1, v4, s4
	v_or3_b32 v1, v1, v2, v3
	buffer_store_dword v1, v0, s[12:15], 0 offen offset:64
	buffer_load_dword v1, off, s[0:3], 0 offset:196
	s_nop 0
	buffer_load_dword v2, off, s[0:3], 0 offset:200
	buffer_load_dword v3, off, s[0:3], 0 offset:204
	;; [unrolled: 1-line block ×3, first 2 shown]
	v_add_u32_e32 v0, s10, v0
	v_add_u32_e32 v5, 64, v0
	s_waitcnt vmcnt(3)
	v_lshlrev_b32_e32 v1, 8, v1
	s_waitcnt vmcnt(2)
	v_lshlrev_b32_e32 v2, 16, v2
	;; [unrolled: 2-line block ×3, first 2 shown]
	v_and_b32_e32 v2, 0xff0000, v2
	s_waitcnt vmcnt(0)
	v_perm_b32 v1, v1, v4, s4
	v_or3_b32 v1, v1, v2, v3
	buffer_store_dword v1, v5, s[12:15], 0 offen
	buffer_load_dword v1, off, s[0:3], 0 offset:180
	s_nop 0
	buffer_load_dword v2, off, s[0:3], 0 offset:184
	buffer_load_dword v3, off, s[0:3], 0 offset:188
	;; [unrolled: 1-line block ×3, first 2 shown]
	s_waitcnt vmcnt(3)
	v_lshlrev_b32_e32 v1, 8, v1
	s_waitcnt vmcnt(2)
	v_lshlrev_b32_e32 v2, 16, v2
	;; [unrolled: 2-line block ×3, first 2 shown]
	v_and_b32_e32 v2, 0xff0000, v2
	s_waitcnt vmcnt(0)
	v_perm_b32 v1, v1, v4, s4
	v_or3_b32 v1, v1, v2, v3
	buffer_store_dword v1, v0, s[12:15], 0 offen
	buffer_load_dword v1, off, s[0:3], 0 offset:212
	s_nop 0
	buffer_load_dword v2, off, s[0:3], 0 offset:216
	buffer_load_dword v3, off, s[0:3], 0 offset:220
	buffer_load_dword v4, off, s[0:3], 0 offset:208
	v_add_u32_e32 v0, s10, v0
	v_add_u32_e32 v5, 64, v0
	;; [unrolled: 1-line block ×3, first 2 shown]
	s_waitcnt vmcnt(3)
	v_lshlrev_b32_e32 v1, 8, v1
	s_waitcnt vmcnt(2)
	v_lshlrev_b32_e32 v2, 16, v2
	;; [unrolled: 2-line block ×3, first 2 shown]
	v_and_b32_e32 v2, 0xff0000, v2
	s_waitcnt vmcnt(0)
	v_perm_b32 v1, v1, v4, s4
	v_or3_b32 v1, v1, v2, v3
	buffer_store_dword v1, v0, s[12:15], 0 offen
	buffer_load_dword v1, off, s[0:3], 0 offset:228
	s_nop 0
	buffer_load_dword v2, off, s[0:3], 0 offset:232
	buffer_load_dword v3, off, s[0:3], 0 offset:236
	;; [unrolled: 1-line block ×3, first 2 shown]
	s_waitcnt vmcnt(3)
	v_lshlrev_b32_e32 v1, 8, v1
	s_waitcnt vmcnt(2)
	v_lshlrev_b32_e32 v2, 16, v2
	s_waitcnt vmcnt(1)
	v_lshlrev_b32_e32 v3, 24, v3
	v_and_b32_e32 v2, 0xff0000, v2
	s_waitcnt vmcnt(0)
	v_perm_b32 v1, v1, v4, s4
	v_or3_b32 v1, v1, v2, v3
	buffer_store_dword v1, v0, s[12:15], 0 offen offset:64
	buffer_load_dword v1, off, s[0:3], 0 offset:260
	s_nop 0
	buffer_load_dword v2, off, s[0:3], 0 offset:264
	buffer_load_dword v3, off, s[0:3], 0 offset:268
	;; [unrolled: 1-line block ×3, first 2 shown]
	v_add_u32_e32 v0, s10, v0
	s_waitcnt vmcnt(3)
	v_lshlrev_b32_e32 v1, 8, v1
	s_waitcnt vmcnt(2)
	v_lshlrev_b32_e32 v2, 16, v2
	;; [unrolled: 2-line block ×3, first 2 shown]
	v_and_b32_e32 v2, 0xff0000, v2
	s_waitcnt vmcnt(0)
	v_perm_b32 v1, v1, v4, s4
	v_or3_b32 v1, v1, v2, v3
	buffer_store_dword v1, v6, s[12:15], 0 offen
	buffer_load_dword v1, off, s[0:3], 0 offset:244
	s_nop 0
	buffer_load_dword v2, off, s[0:3], 0 offset:248
	buffer_load_dword v3, off, s[0:3], 0 offset:252
	;; [unrolled: 1-line block ×3, first 2 shown]
	s_waitcnt vmcnt(3)
	v_lshlrev_b32_e32 v1, 8, v1
	s_waitcnt vmcnt(2)
	v_lshlrev_b32_e32 v2, 16, v2
	;; [unrolled: 2-line block ×3, first 2 shown]
	v_and_b32_e32 v2, 0xff0000, v2
	s_waitcnt vmcnt(0)
	v_perm_b32 v1, v1, v4, s4
	v_or3_b32 v1, v1, v2, v3
	buffer_store_dword v1, v0, s[12:15], 0 offen
	buffer_load_dword v1, off, s[0:3], 0 offset:372
	s_nop 0
	buffer_load_dword v2, off, s[0:3], 0 offset:376
	buffer_load_dword v3, off, s[0:3], 0 offset:380
	buffer_load_dword v4, off, s[0:3], 0 offset:368
	v_add_u32_e32 v0, s5, v0
	s_waitcnt vmcnt(3)
	v_lshlrev_b32_e32 v1, 8, v1
	s_waitcnt vmcnt(2)
	v_lshlrev_b32_e32 v2, 16, v2
	s_waitcnt vmcnt(1)
	v_lshlrev_b32_e32 v3, 24, v3
	v_and_b32_e32 v2, 0xff0000, v2
	s_waitcnt vmcnt(0)
	v_perm_b32 v1, v1, v4, s4
	v_or3_b32 v1, v1, v2, v3
	buffer_store_dword v1, v0, s[12:15], 0 offen
	buffer_load_dword v1, off, s[0:3], 0 offset:388
	s_nop 0
	buffer_load_dword v2, off, s[0:3], 0 offset:392
	buffer_load_dword v3, off, s[0:3], 0 offset:396
	;; [unrolled: 1-line block ×3, first 2 shown]
	s_waitcnt vmcnt(3)
	v_lshlrev_b32_e32 v1, 8, v1
	s_waitcnt vmcnt(2)
	v_lshlrev_b32_e32 v2, 16, v2
	;; [unrolled: 2-line block ×3, first 2 shown]
	v_and_b32_e32 v2, 0xff0000, v2
	s_waitcnt vmcnt(0)
	v_perm_b32 v1, v1, v4, s4
	v_or3_b32 v1, v1, v2, v3
	buffer_store_dword v1, v0, s[12:15], 0 offen offset:64
	buffer_load_dword v0, off, s[0:3], 0 offset:356
	s_nop 0
	buffer_load_dword v1, off, s[0:3], 0 offset:360
	buffer_load_dword v2, off, s[0:3], 0 offset:364
	;; [unrolled: 1-line block ×3, first 2 shown]
	v_add_u32_e32 v4, s5, v5
	s_waitcnt vmcnt(3)
	v_lshlrev_b32_e32 v0, 8, v0
	s_waitcnt vmcnt(2)
	v_lshlrev_b32_e32 v1, 16, v1
	;; [unrolled: 2-line block ×3, first 2 shown]
	v_and_b32_e32 v1, 0xff0000, v1
	s_waitcnt vmcnt(0)
	v_perm_b32 v0, v0, v3, s4
	v_or3_b32 v0, v0, v1, v2
	buffer_store_dword v0, v4, s[12:15], 0 offen
	buffer_load_dword v0, off, s[0:3], 0 offset:340
	s_nop 0
	buffer_load_dword v1, off, s[0:3], 0 offset:344
	buffer_load_dword v2, off, s[0:3], 0 offset:348
	;; [unrolled: 1-line block ×3, first 2 shown]
	v_subrev_u32_e32 v4, 64, v4
	s_waitcnt vmcnt(3)
	v_lshlrev_b32_e32 v0, 8, v0
	s_waitcnt vmcnt(2)
	v_lshlrev_b32_e32 v1, 16, v1
	;; [unrolled: 2-line block ×3, first 2 shown]
	v_and_b32_e32 v1, 0xff0000, v1
	s_waitcnt vmcnt(0)
	v_perm_b32 v0, v0, v3, s4
	v_or3_b32 v0, v0, v1, v2
	buffer_store_dword v0, v4, s[12:15], 0 offen
	buffer_load_dword v0, off, s[0:3], 0 offset:308
	s_nop 0
	buffer_load_dword v1, off, s[0:3], 0 offset:312
	buffer_load_dword v2, off, s[0:3], 0 offset:316
	;; [unrolled: 1-line block ×3, first 2 shown]
	v_subrev_u32_e32 v4, s10, v4
	s_waitcnt vmcnt(3)
	v_lshlrev_b32_e32 v0, 8, v0
	s_waitcnt vmcnt(2)
	v_lshlrev_b32_e32 v1, 16, v1
	;; [unrolled: 2-line block ×3, first 2 shown]
	v_and_b32_e32 v1, 0xff0000, v1
	s_waitcnt vmcnt(0)
	v_perm_b32 v0, v0, v3, s4
	v_or3_b32 v0, v0, v1, v2
	buffer_store_dword v0, v4, s[12:15], 0 offen
	buffer_load_dword v0, off, s[0:3], 0 offset:324
	s_nop 0
	buffer_load_dword v1, off, s[0:3], 0 offset:328
	buffer_load_dword v2, off, s[0:3], 0 offset:332
	;; [unrolled: 1-line block ×3, first 2 shown]
	s_waitcnt vmcnt(3)
	v_lshlrev_b32_e32 v0, 8, v0
	s_waitcnt vmcnt(2)
	v_lshlrev_b32_e32 v1, 16, v1
	;; [unrolled: 2-line block ×3, first 2 shown]
	v_and_b32_e32 v1, 0xff0000, v1
	s_waitcnt vmcnt(0)
	v_perm_b32 v0, v0, v3, s4
	v_or3_b32 v0, v0, v1, v2
	buffer_store_dword v0, v4, s[12:15], 0 offen offset:64
	buffer_load_dword v0, off, s[0:3], 0 offset:292
	s_nop 0
	buffer_load_dword v1, off, s[0:3], 0 offset:296
	buffer_load_dword v2, off, s[0:3], 0 offset:300
	;; [unrolled: 1-line block ×3, first 2 shown]
	v_subrev_u32_e32 v4, s10, v4
	v_add_u32_e32 v5, 64, v4
	s_waitcnt vmcnt(3)
	v_lshlrev_b32_e32 v0, 8, v0
	s_waitcnt vmcnt(2)
	v_lshlrev_b32_e32 v1, 16, v1
	;; [unrolled: 2-line block ×3, first 2 shown]
	v_and_b32_e32 v1, 0xff0000, v1
	s_waitcnt vmcnt(0)
	v_perm_b32 v0, v0, v3, s4
	v_or3_b32 v0, v0, v1, v2
	buffer_store_dword v0, v5, s[12:15], 0 offen
	buffer_load_dword v0, off, s[0:3], 0 offset:276
	s_nop 0
	buffer_load_dword v1, off, s[0:3], 0 offset:280
	buffer_load_dword v2, off, s[0:3], 0 offset:272
	;; [unrolled: 1-line block ×3, first 2 shown]
	s_waitcnt vmcnt(3)
	v_lshlrev_b32_e32 v0, 8, v0
	s_waitcnt vmcnt(2)
	v_lshlrev_b32_e32 v1, 16, v1
	v_and_b32_e32 v1, 0xff0000, v1
	s_waitcnt vmcnt(1)
	v_perm_b32 v0, v0, v2, s4
	s_waitcnt vmcnt(0)
	v_lshlrev_b32_e32 v2, 24, v3
	v_or3_b32 v0, v0, v1, v2
	buffer_store_dword v0, v4, s[12:15], 0 offen
	s_endpgm
	.section	.rodata,"a",@progbits
	.p2align	6, 0x0
	.amdhsa_kernel _ZN2ck19kernel_gemm_dl_v1r3INS_28GridwiseGemmDl_km_kn_mn_v1r3ILi256EaiaLNS_25InMemoryDataOperationEnumE0ENS_16TensorDescriptorINS_5TupleIJNS_5EmbedINS4_IJiiEEENS4_IJNS_17integral_constantIiLi1EEEiEEELb0EEENS_7UnMergeINS4_IJiNS7_IiLi4EEEEEELb0EEENS_11PassThroughIiEEEEENS4_IJNS_8SequenceIJLi0EEEENSI_IJLi2EEEENSI_IJLi1EEEEEEENS4_IJNSI_IJLi1ELi2EEEENSI_IJLi3ELi4EEEENSI_IJLi5EEEEEEENSI_IJLi3ELi5ELi4EEEElEENS3_INS4_IJNS5_IS6_NS4_IJiS8_EEELb0EEESE_SG_EEENS4_IJSJ_SL_SK_EEESQ_SR_lEENS3_INS4_IJSU_SG_SG_EEESW_NS4_IJSN_NSI_IJLi3EEEENSI_IJLi4EEEEEEESO_lEELi128ELi128ELi16ELi4ELi4ELi4ELi1ENSI_IJLi8ELi2EEEES13_NSI_IJLi2ELi1ELi4ELi4EEEENSI_IJLi8ELi1ELi32ELi1EEEENSI_IJLi0ELi3ELi1ELi2EEEES16_NSI_IJLi1ELi1ELi4ELi1EEEES16_NSI_IJLi1ELi1ELi4ELi4EEEES14_S15_S16_S16_S17_S16_S18_NSI_IJLi0ELi1ELi2ELi3ELi4ELi5EEEELi5ELi4EEEaaNS3_INS4_IJSA_SE_SG_SG_NSB_INS4_IJiNS7_IiLi128EEEEEELb0EEENSF_ISC_EEEEENS4_IJSJ_SK_SL_SZ_SP_S10_EEENS4_IJSN_SO_SP_NSI_IJLi6EEEENSI_IJLi7ELi8EEEENSI_IJLi9EEEEEEENSI_IJLi6ELi7ELi8ELi9EEEElEENS3_INS4_IJSU_SE_SG_SG_S1D_S1E_EEENS4_IJSJ_SL_SK_SZ_SP_S10_EEES1K_S1L_lEENS3_INS4_IJSU_SG_SG_NSB_INS4_IJiNS7_IiLi2EEENS7_IiLi64EEEEEELb0EEES1T_EEENS4_IJSJ_SL_SK_SZ_S10_EEENS4_IJSN_SZ_S10_NSI_IJLi5ELi6ELi7EEEENSI_IJLi8ELi9ELi10EEEEEEENSI_IJLi5ELi6ELi7ELi8ELi9ELi10EEEElEENS_31BlockToCTileMap_M00_N00_M01_N01ILi128ELi128ES12_Lb0EEELb0ELb1EEEvPKT0_S25_PT1_T2_T3_T4_T5_
		.amdhsa_group_segment_fixed_size 32768
		.amdhsa_private_segment_fixed_size 480
		.amdhsa_kernarg_size 328
		.amdhsa_user_sgpr_count 8
		.amdhsa_user_sgpr_private_segment_buffer 1
		.amdhsa_user_sgpr_dispatch_ptr 0
		.amdhsa_user_sgpr_queue_ptr 0
		.amdhsa_user_sgpr_kernarg_segment_ptr 1
		.amdhsa_user_sgpr_dispatch_id 0
		.amdhsa_user_sgpr_flat_scratch_init 1
		.amdhsa_user_sgpr_kernarg_preload_length 0
		.amdhsa_user_sgpr_kernarg_preload_offset 0
		.amdhsa_user_sgpr_private_segment_size 0
		.amdhsa_uses_dynamic_stack 0
		.amdhsa_system_sgpr_private_segment_wavefront_offset 1
		.amdhsa_system_sgpr_workgroup_id_x 1
		.amdhsa_system_sgpr_workgroup_id_y 0
		.amdhsa_system_sgpr_workgroup_id_z 0
		.amdhsa_system_sgpr_workgroup_info 0
		.amdhsa_system_vgpr_workitem_id 0
		.amdhsa_next_free_vgpr 92
		.amdhsa_next_free_sgpr 44
		.amdhsa_accum_offset 92
		.amdhsa_reserve_vcc 1
		.amdhsa_reserve_flat_scratch 1
		.amdhsa_float_round_mode_32 0
		.amdhsa_float_round_mode_16_64 0
		.amdhsa_float_denorm_mode_32 3
		.amdhsa_float_denorm_mode_16_64 3
		.amdhsa_dx10_clamp 1
		.amdhsa_ieee_mode 1
		.amdhsa_fp16_overflow 0
		.amdhsa_tg_split 0
		.amdhsa_exception_fp_ieee_invalid_op 0
		.amdhsa_exception_fp_denorm_src 0
		.amdhsa_exception_fp_ieee_div_zero 0
		.amdhsa_exception_fp_ieee_overflow 0
		.amdhsa_exception_fp_ieee_underflow 0
		.amdhsa_exception_fp_ieee_inexact 0
		.amdhsa_exception_int_div_zero 0
	.end_amdhsa_kernel
	.section	.text._ZN2ck19kernel_gemm_dl_v1r3INS_28GridwiseGemmDl_km_kn_mn_v1r3ILi256EaiaLNS_25InMemoryDataOperationEnumE0ENS_16TensorDescriptorINS_5TupleIJNS_5EmbedINS4_IJiiEEENS4_IJNS_17integral_constantIiLi1EEEiEEELb0EEENS_7UnMergeINS4_IJiNS7_IiLi4EEEEEELb0EEENS_11PassThroughIiEEEEENS4_IJNS_8SequenceIJLi0EEEENSI_IJLi2EEEENSI_IJLi1EEEEEEENS4_IJNSI_IJLi1ELi2EEEENSI_IJLi3ELi4EEEENSI_IJLi5EEEEEEENSI_IJLi3ELi5ELi4EEEElEENS3_INS4_IJNS5_IS6_NS4_IJiS8_EEELb0EEESE_SG_EEENS4_IJSJ_SL_SK_EEESQ_SR_lEENS3_INS4_IJSU_SG_SG_EEESW_NS4_IJSN_NSI_IJLi3EEEENSI_IJLi4EEEEEEESO_lEELi128ELi128ELi16ELi4ELi4ELi4ELi1ENSI_IJLi8ELi2EEEES13_NSI_IJLi2ELi1ELi4ELi4EEEENSI_IJLi8ELi1ELi32ELi1EEEENSI_IJLi0ELi3ELi1ELi2EEEES16_NSI_IJLi1ELi1ELi4ELi1EEEES16_NSI_IJLi1ELi1ELi4ELi4EEEES14_S15_S16_S16_S17_S16_S18_NSI_IJLi0ELi1ELi2ELi3ELi4ELi5EEEELi5ELi4EEEaaNS3_INS4_IJSA_SE_SG_SG_NSB_INS4_IJiNS7_IiLi128EEEEEELb0EEENSF_ISC_EEEEENS4_IJSJ_SK_SL_SZ_SP_S10_EEENS4_IJSN_SO_SP_NSI_IJLi6EEEENSI_IJLi7ELi8EEEENSI_IJLi9EEEEEEENSI_IJLi6ELi7ELi8ELi9EEEElEENS3_INS4_IJSU_SE_SG_SG_S1D_S1E_EEENS4_IJSJ_SL_SK_SZ_SP_S10_EEES1K_S1L_lEENS3_INS4_IJSU_SG_SG_NSB_INS4_IJiNS7_IiLi2EEENS7_IiLi64EEEEEELb0EEES1T_EEENS4_IJSJ_SL_SK_SZ_S10_EEENS4_IJSN_SZ_S10_NSI_IJLi5ELi6ELi7EEEENSI_IJLi8ELi9ELi10EEEEEEENSI_IJLi5ELi6ELi7ELi8ELi9ELi10EEEElEENS_31BlockToCTileMap_M00_N00_M01_N01ILi128ELi128ES12_Lb0EEELb0ELb1EEEvPKT0_S25_PT1_T2_T3_T4_T5_,"axG",@progbits,_ZN2ck19kernel_gemm_dl_v1r3INS_28GridwiseGemmDl_km_kn_mn_v1r3ILi256EaiaLNS_25InMemoryDataOperationEnumE0ENS_16TensorDescriptorINS_5TupleIJNS_5EmbedINS4_IJiiEEENS4_IJNS_17integral_constantIiLi1EEEiEEELb0EEENS_7UnMergeINS4_IJiNS7_IiLi4EEEEEELb0EEENS_11PassThroughIiEEEEENS4_IJNS_8SequenceIJLi0EEEENSI_IJLi2EEEENSI_IJLi1EEEEEEENS4_IJNSI_IJLi1ELi2EEEENSI_IJLi3ELi4EEEENSI_IJLi5EEEEEEENSI_IJLi3ELi5ELi4EEEElEENS3_INS4_IJNS5_IS6_NS4_IJiS8_EEELb0EEESE_SG_EEENS4_IJSJ_SL_SK_EEESQ_SR_lEENS3_INS4_IJSU_SG_SG_EEESW_NS4_IJSN_NSI_IJLi3EEEENSI_IJLi4EEEEEEESO_lEELi128ELi128ELi16ELi4ELi4ELi4ELi1ENSI_IJLi8ELi2EEEES13_NSI_IJLi2ELi1ELi4ELi4EEEENSI_IJLi8ELi1ELi32ELi1EEEENSI_IJLi0ELi3ELi1ELi2EEEES16_NSI_IJLi1ELi1ELi4ELi1EEEES16_NSI_IJLi1ELi1ELi4ELi4EEEES14_S15_S16_S16_S17_S16_S18_NSI_IJLi0ELi1ELi2ELi3ELi4ELi5EEEELi5ELi4EEEaaNS3_INS4_IJSA_SE_SG_SG_NSB_INS4_IJiNS7_IiLi128EEEEEELb0EEENSF_ISC_EEEEENS4_IJSJ_SK_SL_SZ_SP_S10_EEENS4_IJSN_SO_SP_NSI_IJLi6EEEENSI_IJLi7ELi8EEEENSI_IJLi9EEEEEEENSI_IJLi6ELi7ELi8ELi9EEEElEENS3_INS4_IJSU_SE_SG_SG_S1D_S1E_EEENS4_IJSJ_SL_SK_SZ_SP_S10_EEES1K_S1L_lEENS3_INS4_IJSU_SG_SG_NSB_INS4_IJiNS7_IiLi2EEENS7_IiLi64EEEEEELb0EEES1T_EEENS4_IJSJ_SL_SK_SZ_S10_EEENS4_IJSN_SZ_S10_NSI_IJLi5ELi6ELi7EEEENSI_IJLi8ELi9ELi10EEEEEEENSI_IJLi5ELi6ELi7ELi8ELi9ELi10EEEElEENS_31BlockToCTileMap_M00_N00_M01_N01ILi128ELi128ES12_Lb0EEELb0ELb1EEEvPKT0_S25_PT1_T2_T3_T4_T5_,comdat
.Lfunc_end4:
	.size	_ZN2ck19kernel_gemm_dl_v1r3INS_28GridwiseGemmDl_km_kn_mn_v1r3ILi256EaiaLNS_25InMemoryDataOperationEnumE0ENS_16TensorDescriptorINS_5TupleIJNS_5EmbedINS4_IJiiEEENS4_IJNS_17integral_constantIiLi1EEEiEEELb0EEENS_7UnMergeINS4_IJiNS7_IiLi4EEEEEELb0EEENS_11PassThroughIiEEEEENS4_IJNS_8SequenceIJLi0EEEENSI_IJLi2EEEENSI_IJLi1EEEEEEENS4_IJNSI_IJLi1ELi2EEEENSI_IJLi3ELi4EEEENSI_IJLi5EEEEEEENSI_IJLi3ELi5ELi4EEEElEENS3_INS4_IJNS5_IS6_NS4_IJiS8_EEELb0EEESE_SG_EEENS4_IJSJ_SL_SK_EEESQ_SR_lEENS3_INS4_IJSU_SG_SG_EEESW_NS4_IJSN_NSI_IJLi3EEEENSI_IJLi4EEEEEEESO_lEELi128ELi128ELi16ELi4ELi4ELi4ELi1ENSI_IJLi8ELi2EEEES13_NSI_IJLi2ELi1ELi4ELi4EEEENSI_IJLi8ELi1ELi32ELi1EEEENSI_IJLi0ELi3ELi1ELi2EEEES16_NSI_IJLi1ELi1ELi4ELi1EEEES16_NSI_IJLi1ELi1ELi4ELi4EEEES14_S15_S16_S16_S17_S16_S18_NSI_IJLi0ELi1ELi2ELi3ELi4ELi5EEEELi5ELi4EEEaaNS3_INS4_IJSA_SE_SG_SG_NSB_INS4_IJiNS7_IiLi128EEEEEELb0EEENSF_ISC_EEEEENS4_IJSJ_SK_SL_SZ_SP_S10_EEENS4_IJSN_SO_SP_NSI_IJLi6EEEENSI_IJLi7ELi8EEEENSI_IJLi9EEEEEEENSI_IJLi6ELi7ELi8ELi9EEEElEENS3_INS4_IJSU_SE_SG_SG_S1D_S1E_EEENS4_IJSJ_SL_SK_SZ_SP_S10_EEES1K_S1L_lEENS3_INS4_IJSU_SG_SG_NSB_INS4_IJiNS7_IiLi2EEENS7_IiLi64EEEEEELb0EEES1T_EEENS4_IJSJ_SL_SK_SZ_S10_EEENS4_IJSN_SZ_S10_NSI_IJLi5ELi6ELi7EEEENSI_IJLi8ELi9ELi10EEEEEEENSI_IJLi5ELi6ELi7ELi8ELi9ELi10EEEElEENS_31BlockToCTileMap_M00_N00_M01_N01ILi128ELi128ES12_Lb0EEELb0ELb1EEEvPKT0_S25_PT1_T2_T3_T4_T5_, .Lfunc_end4-_ZN2ck19kernel_gemm_dl_v1r3INS_28GridwiseGemmDl_km_kn_mn_v1r3ILi256EaiaLNS_25InMemoryDataOperationEnumE0ENS_16TensorDescriptorINS_5TupleIJNS_5EmbedINS4_IJiiEEENS4_IJNS_17integral_constantIiLi1EEEiEEELb0EEENS_7UnMergeINS4_IJiNS7_IiLi4EEEEEELb0EEENS_11PassThroughIiEEEEENS4_IJNS_8SequenceIJLi0EEEENSI_IJLi2EEEENSI_IJLi1EEEEEEENS4_IJNSI_IJLi1ELi2EEEENSI_IJLi3ELi4EEEENSI_IJLi5EEEEEEENSI_IJLi3ELi5ELi4EEEElEENS3_INS4_IJNS5_IS6_NS4_IJiS8_EEELb0EEESE_SG_EEENS4_IJSJ_SL_SK_EEESQ_SR_lEENS3_INS4_IJSU_SG_SG_EEESW_NS4_IJSN_NSI_IJLi3EEEENSI_IJLi4EEEEEEESO_lEELi128ELi128ELi16ELi4ELi4ELi4ELi1ENSI_IJLi8ELi2EEEES13_NSI_IJLi2ELi1ELi4ELi4EEEENSI_IJLi8ELi1ELi32ELi1EEEENSI_IJLi0ELi3ELi1ELi2EEEES16_NSI_IJLi1ELi1ELi4ELi1EEEES16_NSI_IJLi1ELi1ELi4ELi4EEEES14_S15_S16_S16_S17_S16_S18_NSI_IJLi0ELi1ELi2ELi3ELi4ELi5EEEELi5ELi4EEEaaNS3_INS4_IJSA_SE_SG_SG_NSB_INS4_IJiNS7_IiLi128EEEEEELb0EEENSF_ISC_EEEEENS4_IJSJ_SK_SL_SZ_SP_S10_EEENS4_IJSN_SO_SP_NSI_IJLi6EEEENSI_IJLi7ELi8EEEENSI_IJLi9EEEEEEENSI_IJLi6ELi7ELi8ELi9EEEElEENS3_INS4_IJSU_SE_SG_SG_S1D_S1E_EEENS4_IJSJ_SL_SK_SZ_SP_S10_EEES1K_S1L_lEENS3_INS4_IJSU_SG_SG_NSB_INS4_IJiNS7_IiLi2EEENS7_IiLi64EEEEEELb0EEES1T_EEENS4_IJSJ_SL_SK_SZ_S10_EEENS4_IJSN_SZ_S10_NSI_IJLi5ELi6ELi7EEEENSI_IJLi8ELi9ELi10EEEEEEENSI_IJLi5ELi6ELi7ELi8ELi9ELi10EEEElEENS_31BlockToCTileMap_M00_N00_M01_N01ILi128ELi128ES12_Lb0EEELb0ELb1EEEvPKT0_S25_PT1_T2_T3_T4_T5_
                                        ; -- End function
	.section	.AMDGPU.csdata,"",@progbits
; Kernel info:
; codeLenInByte = 8560
; NumSgprs: 50
; NumVgprs: 92
; NumAgprs: 0
; TotalNumVgprs: 92
; ScratchSize: 480
; MemoryBound: 0
; FloatMode: 240
; IeeeMode: 1
; LDSByteSize: 32768 bytes/workgroup (compile time only)
; SGPRBlocks: 6
; VGPRBlocks: 11
; NumSGPRsForWavesPerEU: 50
; NumVGPRsForWavesPerEU: 92
; AccumOffset: 92
; Occupancy: 2
; WaveLimiterHint : 1
; COMPUTE_PGM_RSRC2:SCRATCH_EN: 1
; COMPUTE_PGM_RSRC2:USER_SGPR: 8
; COMPUTE_PGM_RSRC2:TRAP_HANDLER: 0
; COMPUTE_PGM_RSRC2:TGID_X_EN: 1
; COMPUTE_PGM_RSRC2:TGID_Y_EN: 0
; COMPUTE_PGM_RSRC2:TGID_Z_EN: 0
; COMPUTE_PGM_RSRC2:TIDIG_COMP_CNT: 0
; COMPUTE_PGM_RSRC3_GFX90A:ACCUM_OFFSET: 22
; COMPUTE_PGM_RSRC3_GFX90A:TG_SPLIT: 0
	.section	.text._ZN2ck19kernel_gemm_dl_v1r3INS_28GridwiseGemmDl_km_kn_mn_v1r3ILi256EaiaLNS_25InMemoryDataOperationEnumE0ENS_16TensorDescriptorINS_5TupleIJNS_5EmbedINS4_IJiiEEENS4_IJNS_17integral_constantIiLi1EEEiEEELb0EEENS_7UnMergeINS4_IJiNS7_IiLi4EEEEEELb0EEENS_11PassThroughIiEEEEENS4_IJNS_8SequenceIJLi0EEEENSI_IJLi2EEEENSI_IJLi1EEEEEEENS4_IJNSI_IJLi1ELi2EEEENSI_IJLi3ELi4EEEENSI_IJLi5EEEEEEENSI_IJLi3ELi5ELi4EEEElEENS3_INS4_IJNS5_IS6_NS4_IJiS8_EEELb0EEESE_SG_EEENS4_IJSJ_SL_SK_EEESQ_SR_lEENS3_INS4_IJSU_SG_SG_EEESW_NS4_IJSN_NSI_IJLi3EEEENSI_IJLi4EEEEEEESO_lEELi128ELi128ELi16ELi4ELi4ELi4ELi1ENSI_IJLi8ELi2EEEES13_NSI_IJLi2ELi1ELi4ELi4EEEENSI_IJLi8ELi1ELi32ELi1EEEENSI_IJLi0ELi3ELi1ELi2EEEES16_NSI_IJLi1ELi1ELi4ELi1EEEES16_NSI_IJLi1ELi1ELi4ELi4EEEES14_S15_S16_S16_S17_S16_S18_NSI_IJLi0ELi1ELi2ELi3ELi4ELi5EEEELi5ELi4EEEaaNS3_INS4_IJSA_SE_SG_SG_NSB_INS4_IJiNS7_IiLi128EEEEEELb0EEENSF_ISC_EEEEENS4_IJSJ_SK_SL_SZ_SP_S10_EEENS4_IJSN_SO_SP_NSI_IJLi6EEEENSI_IJLi7ELi8EEEENSI_IJLi9EEEEEEENSI_IJLi6ELi7ELi8ELi9EEEElEENS3_INS4_IJSU_SE_SG_SG_S1D_S1E_EEENS4_IJSJ_SL_SK_SZ_SP_S10_EEES1K_S1L_lEENS3_INS4_IJSU_SG_SG_NSB_INS4_IJiNS7_IiLi2EEENS7_IiLi64EEEEEELb0EEES1T_EEENS4_IJSJ_SL_SK_SZ_S10_EEENS4_IJSN_SZ_S10_NSI_IJLi5ELi6ELi7EEEENSI_IJLi8ELi9ELi10EEEEEEENSI_IJLi5ELi6ELi7ELi8ELi9ELi10EEEElEENS_31BlockToCTileMap_M00_N00_M01_N01ILi128ELi128ES12_Lb0EEELb0ELb0EEEvPKT0_S25_PT1_T2_T3_T4_T5_,"axG",@progbits,_ZN2ck19kernel_gemm_dl_v1r3INS_28GridwiseGemmDl_km_kn_mn_v1r3ILi256EaiaLNS_25InMemoryDataOperationEnumE0ENS_16TensorDescriptorINS_5TupleIJNS_5EmbedINS4_IJiiEEENS4_IJNS_17integral_constantIiLi1EEEiEEELb0EEENS_7UnMergeINS4_IJiNS7_IiLi4EEEEEELb0EEENS_11PassThroughIiEEEEENS4_IJNS_8SequenceIJLi0EEEENSI_IJLi2EEEENSI_IJLi1EEEEEEENS4_IJNSI_IJLi1ELi2EEEENSI_IJLi3ELi4EEEENSI_IJLi5EEEEEEENSI_IJLi3ELi5ELi4EEEElEENS3_INS4_IJNS5_IS6_NS4_IJiS8_EEELb0EEESE_SG_EEENS4_IJSJ_SL_SK_EEESQ_SR_lEENS3_INS4_IJSU_SG_SG_EEESW_NS4_IJSN_NSI_IJLi3EEEENSI_IJLi4EEEEEEESO_lEELi128ELi128ELi16ELi4ELi4ELi4ELi1ENSI_IJLi8ELi2EEEES13_NSI_IJLi2ELi1ELi4ELi4EEEENSI_IJLi8ELi1ELi32ELi1EEEENSI_IJLi0ELi3ELi1ELi2EEEES16_NSI_IJLi1ELi1ELi4ELi1EEEES16_NSI_IJLi1ELi1ELi4ELi4EEEES14_S15_S16_S16_S17_S16_S18_NSI_IJLi0ELi1ELi2ELi3ELi4ELi5EEEELi5ELi4EEEaaNS3_INS4_IJSA_SE_SG_SG_NSB_INS4_IJiNS7_IiLi128EEEEEELb0EEENSF_ISC_EEEEENS4_IJSJ_SK_SL_SZ_SP_S10_EEENS4_IJSN_SO_SP_NSI_IJLi6EEEENSI_IJLi7ELi8EEEENSI_IJLi9EEEEEEENSI_IJLi6ELi7ELi8ELi9EEEElEENS3_INS4_IJSU_SE_SG_SG_S1D_S1E_EEENS4_IJSJ_SL_SK_SZ_SP_S10_EEES1K_S1L_lEENS3_INS4_IJSU_SG_SG_NSB_INS4_IJiNS7_IiLi2EEENS7_IiLi64EEEEEELb0EEES1T_EEENS4_IJSJ_SL_SK_SZ_S10_EEENS4_IJSN_SZ_S10_NSI_IJLi5ELi6ELi7EEEENSI_IJLi8ELi9ELi10EEEEEEENSI_IJLi5ELi6ELi7ELi8ELi9ELi10EEEElEENS_31BlockToCTileMap_M00_N00_M01_N01ILi128ELi128ES12_Lb0EEELb0ELb0EEEvPKT0_S25_PT1_T2_T3_T4_T5_,comdat
	.protected	_ZN2ck19kernel_gemm_dl_v1r3INS_28GridwiseGemmDl_km_kn_mn_v1r3ILi256EaiaLNS_25InMemoryDataOperationEnumE0ENS_16TensorDescriptorINS_5TupleIJNS_5EmbedINS4_IJiiEEENS4_IJNS_17integral_constantIiLi1EEEiEEELb0EEENS_7UnMergeINS4_IJiNS7_IiLi4EEEEEELb0EEENS_11PassThroughIiEEEEENS4_IJNS_8SequenceIJLi0EEEENSI_IJLi2EEEENSI_IJLi1EEEEEEENS4_IJNSI_IJLi1ELi2EEEENSI_IJLi3ELi4EEEENSI_IJLi5EEEEEEENSI_IJLi3ELi5ELi4EEEElEENS3_INS4_IJNS5_IS6_NS4_IJiS8_EEELb0EEESE_SG_EEENS4_IJSJ_SL_SK_EEESQ_SR_lEENS3_INS4_IJSU_SG_SG_EEESW_NS4_IJSN_NSI_IJLi3EEEENSI_IJLi4EEEEEEESO_lEELi128ELi128ELi16ELi4ELi4ELi4ELi1ENSI_IJLi8ELi2EEEES13_NSI_IJLi2ELi1ELi4ELi4EEEENSI_IJLi8ELi1ELi32ELi1EEEENSI_IJLi0ELi3ELi1ELi2EEEES16_NSI_IJLi1ELi1ELi4ELi1EEEES16_NSI_IJLi1ELi1ELi4ELi4EEEES14_S15_S16_S16_S17_S16_S18_NSI_IJLi0ELi1ELi2ELi3ELi4ELi5EEEELi5ELi4EEEaaNS3_INS4_IJSA_SE_SG_SG_NSB_INS4_IJiNS7_IiLi128EEEEEELb0EEENSF_ISC_EEEEENS4_IJSJ_SK_SL_SZ_SP_S10_EEENS4_IJSN_SO_SP_NSI_IJLi6EEEENSI_IJLi7ELi8EEEENSI_IJLi9EEEEEEENSI_IJLi6ELi7ELi8ELi9EEEElEENS3_INS4_IJSU_SE_SG_SG_S1D_S1E_EEENS4_IJSJ_SL_SK_SZ_SP_S10_EEES1K_S1L_lEENS3_INS4_IJSU_SG_SG_NSB_INS4_IJiNS7_IiLi2EEENS7_IiLi64EEEEEELb0EEES1T_EEENS4_IJSJ_SL_SK_SZ_S10_EEENS4_IJSN_SZ_S10_NSI_IJLi5ELi6ELi7EEEENSI_IJLi8ELi9ELi10EEEEEEENSI_IJLi5ELi6ELi7ELi8ELi9ELi10EEEElEENS_31BlockToCTileMap_M00_N00_M01_N01ILi128ELi128ES12_Lb0EEELb0ELb0EEEvPKT0_S25_PT1_T2_T3_T4_T5_ ; -- Begin function _ZN2ck19kernel_gemm_dl_v1r3INS_28GridwiseGemmDl_km_kn_mn_v1r3ILi256EaiaLNS_25InMemoryDataOperationEnumE0ENS_16TensorDescriptorINS_5TupleIJNS_5EmbedINS4_IJiiEEENS4_IJNS_17integral_constantIiLi1EEEiEEELb0EEENS_7UnMergeINS4_IJiNS7_IiLi4EEEEEELb0EEENS_11PassThroughIiEEEEENS4_IJNS_8SequenceIJLi0EEEENSI_IJLi2EEEENSI_IJLi1EEEEEEENS4_IJNSI_IJLi1ELi2EEEENSI_IJLi3ELi4EEEENSI_IJLi5EEEEEEENSI_IJLi3ELi5ELi4EEEElEENS3_INS4_IJNS5_IS6_NS4_IJiS8_EEELb0EEESE_SG_EEENS4_IJSJ_SL_SK_EEESQ_SR_lEENS3_INS4_IJSU_SG_SG_EEESW_NS4_IJSN_NSI_IJLi3EEEENSI_IJLi4EEEEEEESO_lEELi128ELi128ELi16ELi4ELi4ELi4ELi1ENSI_IJLi8ELi2EEEES13_NSI_IJLi2ELi1ELi4ELi4EEEENSI_IJLi8ELi1ELi32ELi1EEEENSI_IJLi0ELi3ELi1ELi2EEEES16_NSI_IJLi1ELi1ELi4ELi1EEEES16_NSI_IJLi1ELi1ELi4ELi4EEEES14_S15_S16_S16_S17_S16_S18_NSI_IJLi0ELi1ELi2ELi3ELi4ELi5EEEELi5ELi4EEEaaNS3_INS4_IJSA_SE_SG_SG_NSB_INS4_IJiNS7_IiLi128EEEEEELb0EEENSF_ISC_EEEEENS4_IJSJ_SK_SL_SZ_SP_S10_EEENS4_IJSN_SO_SP_NSI_IJLi6EEEENSI_IJLi7ELi8EEEENSI_IJLi9EEEEEEENSI_IJLi6ELi7ELi8ELi9EEEElEENS3_INS4_IJSU_SE_SG_SG_S1D_S1E_EEENS4_IJSJ_SL_SK_SZ_SP_S10_EEES1K_S1L_lEENS3_INS4_IJSU_SG_SG_NSB_INS4_IJiNS7_IiLi2EEENS7_IiLi64EEEEEELb0EEES1T_EEENS4_IJSJ_SL_SK_SZ_S10_EEENS4_IJSN_SZ_S10_NSI_IJLi5ELi6ELi7EEEENSI_IJLi8ELi9ELi10EEEEEEENSI_IJLi5ELi6ELi7ELi8ELi9ELi10EEEElEENS_31BlockToCTileMap_M00_N00_M01_N01ILi128ELi128ES12_Lb0EEELb0ELb0EEEvPKT0_S25_PT1_T2_T3_T4_T5_
	.globl	_ZN2ck19kernel_gemm_dl_v1r3INS_28GridwiseGemmDl_km_kn_mn_v1r3ILi256EaiaLNS_25InMemoryDataOperationEnumE0ENS_16TensorDescriptorINS_5TupleIJNS_5EmbedINS4_IJiiEEENS4_IJNS_17integral_constantIiLi1EEEiEEELb0EEENS_7UnMergeINS4_IJiNS7_IiLi4EEEEEELb0EEENS_11PassThroughIiEEEEENS4_IJNS_8SequenceIJLi0EEEENSI_IJLi2EEEENSI_IJLi1EEEEEEENS4_IJNSI_IJLi1ELi2EEEENSI_IJLi3ELi4EEEENSI_IJLi5EEEEEEENSI_IJLi3ELi5ELi4EEEElEENS3_INS4_IJNS5_IS6_NS4_IJiS8_EEELb0EEESE_SG_EEENS4_IJSJ_SL_SK_EEESQ_SR_lEENS3_INS4_IJSU_SG_SG_EEESW_NS4_IJSN_NSI_IJLi3EEEENSI_IJLi4EEEEEEESO_lEELi128ELi128ELi16ELi4ELi4ELi4ELi1ENSI_IJLi8ELi2EEEES13_NSI_IJLi2ELi1ELi4ELi4EEEENSI_IJLi8ELi1ELi32ELi1EEEENSI_IJLi0ELi3ELi1ELi2EEEES16_NSI_IJLi1ELi1ELi4ELi1EEEES16_NSI_IJLi1ELi1ELi4ELi4EEEES14_S15_S16_S16_S17_S16_S18_NSI_IJLi0ELi1ELi2ELi3ELi4ELi5EEEELi5ELi4EEEaaNS3_INS4_IJSA_SE_SG_SG_NSB_INS4_IJiNS7_IiLi128EEEEEELb0EEENSF_ISC_EEEEENS4_IJSJ_SK_SL_SZ_SP_S10_EEENS4_IJSN_SO_SP_NSI_IJLi6EEEENSI_IJLi7ELi8EEEENSI_IJLi9EEEEEEENSI_IJLi6ELi7ELi8ELi9EEEElEENS3_INS4_IJSU_SE_SG_SG_S1D_S1E_EEENS4_IJSJ_SL_SK_SZ_SP_S10_EEES1K_S1L_lEENS3_INS4_IJSU_SG_SG_NSB_INS4_IJiNS7_IiLi2EEENS7_IiLi64EEEEEELb0EEES1T_EEENS4_IJSJ_SL_SK_SZ_S10_EEENS4_IJSN_SZ_S10_NSI_IJLi5ELi6ELi7EEEENSI_IJLi8ELi9ELi10EEEEEEENSI_IJLi5ELi6ELi7ELi8ELi9ELi10EEEElEENS_31BlockToCTileMap_M00_N00_M01_N01ILi128ELi128ES12_Lb0EEELb0ELb0EEEvPKT0_S25_PT1_T2_T3_T4_T5_
	.p2align	8
	.type	_ZN2ck19kernel_gemm_dl_v1r3INS_28GridwiseGemmDl_km_kn_mn_v1r3ILi256EaiaLNS_25InMemoryDataOperationEnumE0ENS_16TensorDescriptorINS_5TupleIJNS_5EmbedINS4_IJiiEEENS4_IJNS_17integral_constantIiLi1EEEiEEELb0EEENS_7UnMergeINS4_IJiNS7_IiLi4EEEEEELb0EEENS_11PassThroughIiEEEEENS4_IJNS_8SequenceIJLi0EEEENSI_IJLi2EEEENSI_IJLi1EEEEEEENS4_IJNSI_IJLi1ELi2EEEENSI_IJLi3ELi4EEEENSI_IJLi5EEEEEEENSI_IJLi3ELi5ELi4EEEElEENS3_INS4_IJNS5_IS6_NS4_IJiS8_EEELb0EEESE_SG_EEENS4_IJSJ_SL_SK_EEESQ_SR_lEENS3_INS4_IJSU_SG_SG_EEESW_NS4_IJSN_NSI_IJLi3EEEENSI_IJLi4EEEEEEESO_lEELi128ELi128ELi16ELi4ELi4ELi4ELi1ENSI_IJLi8ELi2EEEES13_NSI_IJLi2ELi1ELi4ELi4EEEENSI_IJLi8ELi1ELi32ELi1EEEENSI_IJLi0ELi3ELi1ELi2EEEES16_NSI_IJLi1ELi1ELi4ELi1EEEES16_NSI_IJLi1ELi1ELi4ELi4EEEES14_S15_S16_S16_S17_S16_S18_NSI_IJLi0ELi1ELi2ELi3ELi4ELi5EEEELi5ELi4EEEaaNS3_INS4_IJSA_SE_SG_SG_NSB_INS4_IJiNS7_IiLi128EEEEEELb0EEENSF_ISC_EEEEENS4_IJSJ_SK_SL_SZ_SP_S10_EEENS4_IJSN_SO_SP_NSI_IJLi6EEEENSI_IJLi7ELi8EEEENSI_IJLi9EEEEEEENSI_IJLi6ELi7ELi8ELi9EEEElEENS3_INS4_IJSU_SE_SG_SG_S1D_S1E_EEENS4_IJSJ_SL_SK_SZ_SP_S10_EEES1K_S1L_lEENS3_INS4_IJSU_SG_SG_NSB_INS4_IJiNS7_IiLi2EEENS7_IiLi64EEEEEELb0EEES1T_EEENS4_IJSJ_SL_SK_SZ_S10_EEENS4_IJSN_SZ_S10_NSI_IJLi5ELi6ELi7EEEENSI_IJLi8ELi9ELi10EEEEEEENSI_IJLi5ELi6ELi7ELi8ELi9ELi10EEEElEENS_31BlockToCTileMap_M00_N00_M01_N01ILi128ELi128ES12_Lb0EEELb0ELb0EEEvPKT0_S25_PT1_T2_T3_T4_T5_,@function
_ZN2ck19kernel_gemm_dl_v1r3INS_28GridwiseGemmDl_km_kn_mn_v1r3ILi256EaiaLNS_25InMemoryDataOperationEnumE0ENS_16TensorDescriptorINS_5TupleIJNS_5EmbedINS4_IJiiEEENS4_IJNS_17integral_constantIiLi1EEEiEEELb0EEENS_7UnMergeINS4_IJiNS7_IiLi4EEEEEELb0EEENS_11PassThroughIiEEEEENS4_IJNS_8SequenceIJLi0EEEENSI_IJLi2EEEENSI_IJLi1EEEEEEENS4_IJNSI_IJLi1ELi2EEEENSI_IJLi3ELi4EEEENSI_IJLi5EEEEEEENSI_IJLi3ELi5ELi4EEEElEENS3_INS4_IJNS5_IS6_NS4_IJiS8_EEELb0EEESE_SG_EEENS4_IJSJ_SL_SK_EEESQ_SR_lEENS3_INS4_IJSU_SG_SG_EEESW_NS4_IJSN_NSI_IJLi3EEEENSI_IJLi4EEEEEEESO_lEELi128ELi128ELi16ELi4ELi4ELi4ELi1ENSI_IJLi8ELi2EEEES13_NSI_IJLi2ELi1ELi4ELi4EEEENSI_IJLi8ELi1ELi32ELi1EEEENSI_IJLi0ELi3ELi1ELi2EEEES16_NSI_IJLi1ELi1ELi4ELi1EEEES16_NSI_IJLi1ELi1ELi4ELi4EEEES14_S15_S16_S16_S17_S16_S18_NSI_IJLi0ELi1ELi2ELi3ELi4ELi5EEEELi5ELi4EEEaaNS3_INS4_IJSA_SE_SG_SG_NSB_INS4_IJiNS7_IiLi128EEEEEELb0EEENSF_ISC_EEEEENS4_IJSJ_SK_SL_SZ_SP_S10_EEENS4_IJSN_SO_SP_NSI_IJLi6EEEENSI_IJLi7ELi8EEEENSI_IJLi9EEEEEEENSI_IJLi6ELi7ELi8ELi9EEEElEENS3_INS4_IJSU_SE_SG_SG_S1D_S1E_EEENS4_IJSJ_SL_SK_SZ_SP_S10_EEES1K_S1L_lEENS3_INS4_IJSU_SG_SG_NSB_INS4_IJiNS7_IiLi2EEENS7_IiLi64EEEEEELb0EEES1T_EEENS4_IJSJ_SL_SK_SZ_S10_EEENS4_IJSN_SZ_S10_NSI_IJLi5ELi6ELi7EEEENSI_IJLi8ELi9ELi10EEEEEEENSI_IJLi5ELi6ELi7ELi8ELi9ELi10EEEElEENS_31BlockToCTileMap_M00_N00_M01_N01ILi128ELi128ES12_Lb0EEELb0ELb0EEEvPKT0_S25_PT1_T2_T3_T4_T5_: ; @_ZN2ck19kernel_gemm_dl_v1r3INS_28GridwiseGemmDl_km_kn_mn_v1r3ILi256EaiaLNS_25InMemoryDataOperationEnumE0ENS_16TensorDescriptorINS_5TupleIJNS_5EmbedINS4_IJiiEEENS4_IJNS_17integral_constantIiLi1EEEiEEELb0EEENS_7UnMergeINS4_IJiNS7_IiLi4EEEEEELb0EEENS_11PassThroughIiEEEEENS4_IJNS_8SequenceIJLi0EEEENSI_IJLi2EEEENSI_IJLi1EEEEEEENS4_IJNSI_IJLi1ELi2EEEENSI_IJLi3ELi4EEEENSI_IJLi5EEEEEEENSI_IJLi3ELi5ELi4EEEElEENS3_INS4_IJNS5_IS6_NS4_IJiS8_EEELb0EEESE_SG_EEENS4_IJSJ_SL_SK_EEESQ_SR_lEENS3_INS4_IJSU_SG_SG_EEESW_NS4_IJSN_NSI_IJLi3EEEENSI_IJLi4EEEEEEESO_lEELi128ELi128ELi16ELi4ELi4ELi4ELi1ENSI_IJLi8ELi2EEEES13_NSI_IJLi2ELi1ELi4ELi4EEEENSI_IJLi8ELi1ELi32ELi1EEEENSI_IJLi0ELi3ELi1ELi2EEEES16_NSI_IJLi1ELi1ELi4ELi1EEEES16_NSI_IJLi1ELi1ELi4ELi4EEEES14_S15_S16_S16_S17_S16_S18_NSI_IJLi0ELi1ELi2ELi3ELi4ELi5EEEELi5ELi4EEEaaNS3_INS4_IJSA_SE_SG_SG_NSB_INS4_IJiNS7_IiLi128EEEEEELb0EEENSF_ISC_EEEEENS4_IJSJ_SK_SL_SZ_SP_S10_EEENS4_IJSN_SO_SP_NSI_IJLi6EEEENSI_IJLi7ELi8EEEENSI_IJLi9EEEEEEENSI_IJLi6ELi7ELi8ELi9EEEElEENS3_INS4_IJSU_SE_SG_SG_S1D_S1E_EEENS4_IJSJ_SL_SK_SZ_SP_S10_EEES1K_S1L_lEENS3_INS4_IJSU_SG_SG_NSB_INS4_IJiNS7_IiLi2EEENS7_IiLi64EEEEEELb0EEES1T_EEENS4_IJSJ_SL_SK_SZ_S10_EEENS4_IJSN_SZ_S10_NSI_IJLi5ELi6ELi7EEEENSI_IJLi8ELi9ELi10EEEEEEENSI_IJLi5ELi6ELi7ELi8ELi9ELi10EEEElEENS_31BlockToCTileMap_M00_N00_M01_N01ILi128ELi128ES12_Lb0EEELb0ELb0EEEvPKT0_S25_PT1_T2_T3_T4_T5_
; %bb.0:
	s_add_u32 flat_scratch_lo, s6, s9
	s_addc_u32 flat_scratch_hi, s7, 0
	s_add_u32 s0, s0, s9
	s_load_dwordx4 s[20:23], s[4:5], 0x0
	s_load_dwordx2 s[12:13], s[4:5], 0x10
	s_load_dwordx4 s[24:27], s[4:5], 0x108
	s_load_dwordx4 s[28:31], s[4:5], 0x11c
	;; [unrolled: 1-line block ×3, first 2 shown]
	s_load_dword s7, s[4:5], 0x24
	s_load_dword s18, s[4:5], 0x50
	;; [unrolled: 1-line block ×8, first 2 shown]
	s_waitcnt lgkmcnt(0)
	s_mul_hi_u32 s4, s31, s8
	s_addc_u32 s1, s1, 0
	s_add_i32 s4, s8, s4
	s_lshr_b32 s31, s4, s39
	s_mul_hi_u32 s4, s31, s30
	s_add_i32 s4, s31, s4
	s_lshr_b32 s30, s4, s38
	s_mul_hi_u32 s5, s30, s29
	s_add_i32 s5, s30, s5
	s_mul_i32 s4, s30, s26
	s_lshr_b32 s26, s5, s37
	s_mul_hi_u32 s5, s26, s28
	s_add_i32 s5, s26, s5
	s_lshr_b32 s5, s5, s36
	s_mul_i32 s5, s5, s24
	v_lshrrev_b32_e32 v1, 4, v0
	v_lshlrev_b32_e32 v2, 2, v0
	v_lshrrev_b32_e32 v6, 5, v0
	v_lshlrev_b32_e32 v0, 1, v0
	s_sub_i32 s5, s26, s5
	v_and_b32_e32 v8, 0x1f8, v0
	v_and_b32_e32 v0, 0x1fc, v0
	s_sub_i32 s4, s31, s4
	s_mul_i32 s5, s5, s10
	v_and_b32_e32 v1, 14, v1
	v_lshlrev_b32_e32 v7, 6, v6
	v_sub_u32_e32 v0, v0, v8
	s_add_i32 s4, s4, s5
	v_lshlrev_b32_e32 v4, 2, v1
	v_sub_u32_e32 v7, v8, v7
	v_lshl_add_u32 v35, v6, 3, v0
	v_and_b32_e32 v3, 0x7c, v2
	s_lshl_b32 s10, s4, 7
	v_mul_lo_u32 v5, s7, v4
	v_and_or_b32 v34, v2, 4, v7
	v_mov_b32_e32 v6, 0
	v_lshlrev_b32_e32 v0, 2, v35
	v_add3_u32 v5, v5, v3, s10
	buffer_store_dword v6, off, s[0:3], 0 offset:64
	buffer_store_dword v35, off, s[0:3], 0 offset:68
	;; [unrolled: 1-line block ×12, first 2 shown]
	v_lshlrev_b32_e32 v0, 2, v34
	s_mov_b64 s[4:5], src_shared_base
	s_mul_i32 s26, s26, s25
	buffer_store_dword v0, off, s[0:3], 0 offset:112
	buffer_store_dword v6, off, s[0:3], 0 offset:116
	;; [unrolled: 1-line block ×72, first 2 shown]
	v_mov_b32_e32 v0, s5
	v_add_u32_e32 v2, s7, v5
	s_mul_i32 s31, s31, s27
	s_sub_i32 s5, s30, s26
	buffer_store_dword v0, off, s[0:3], 0 offset:404
	buffer_store_dword v6, off, s[0:3], 0 offset:400
	buffer_store_byte v6, off, s[0:3], 0 offset:409
	buffer_store_dword v0, off, s[0:3], 0 offset:420
	v_mov_b32_e32 v0, 0x4000
	s_sub_i32 s4, s8, s31
	v_add_u32_e32 v8, s7, v2
	s_mul_i32 s5, s5, s15
	buffer_store_dword v0, off, s[0:3], 0 offset:416
	buffer_store_byte v6, off, s[0:3], 0 offset:425
	s_mov_b32 s19, 0x20000
	s_mov_b32 s16, s20
	;; [unrolled: 1-line block ×3, first 2 shown]
	v_add_u32_e32 v9, s7, v8
	s_lshl_b32 s7, s7, 2
	s_add_i32 s4, s4, s5
	buffer_load_dword v0, v5, s[16:19], 0 offen
	buffer_load_dword v7, v2, s[16:19], 0 offen
	;; [unrolled: 1-line block ×4, first 2 shown]
	v_add_u32_e32 v9, s7, v9
	v_add_u32_e32 v8, s7, v8
	s_lshl_b32 s8, s4, 7
	v_mul_lo_u32 v4, s11, v4
	v_add_u32_e32 v2, s7, v2
	buffer_load_dword v12, v9, s[16:19], 0 offen
	buffer_load_dword v13, v8, s[16:19], 0 offen
	v_add_u32_e32 v5, s7, v5
	buffer_load_dword v8, v2, s[16:19], 0 offen
	buffer_load_dword v9, v5, s[16:19], 0 offen
	v_add3_u32 v2, v4, v3, s8
	v_add_u32_e32 v4, s11, v2
	v_add_u32_e32 v15, s11, v4
	s_mov_b32 s4, s22
	s_mov_b32 s5, s23
	;; [unrolled: 1-line block ×3, first 2 shown]
	v_add_u32_e32 v16, s11, v15
	s_lshl_b32 s11, s11, 2
	buffer_load_dword v5, v2, s[4:7], 0 offen
	buffer_load_dword v14, v4, s[4:7], 0 offen
	;; [unrolled: 1-line block ×4, first 2 shown]
	v_add_u32_e32 v16, s11, v16
	v_add_u32_e32 v15, s11, v15
	;; [unrolled: 1-line block ×3, first 2 shown]
	buffer_load_dword v19, v16, s[4:7], 0 offen
	buffer_load_dword v20, v15, s[4:7], 0 offen
	v_add_u32_e32 v2, s11, v2
	buffer_load_dword v15, v4, s[4:7], 0 offen
	buffer_load_dword v16, v2, s[4:7], 0 offen
	v_lshlrev_b32_e32 v2, 2, v3
	s_movk_i32 s5, 0xff00
	v_lshl_or_b32 v4, v1, 9, v2
	s_movk_i32 s4, 0xff
	s_movk_i32 s32, 0x7000
	s_getpc_b64 s[6:7]
	s_add_u32 s6, s6, _ZNK2ck6detail15static_for_implINS_8SequenceIJLi1ELi2ELi3ELi4ELi5ELi6ELi7ELi8ELi9ELi10ELi11ELi12ELi13ELi14ELi15EEEEEclIZNKS_80BlockwiseGemmDl_A_BK0_BM_BK1_B_BK0_BN_BK1_C_BM0_BM1_BN0_BN1_pipeline_BM0_2_BN0_2ILi256EaaiKNS_16TensorDescriptorINS_5TupleIJNS_5EmbedINS8_IJNS_17integral_constantIiLi16EEENSA_IiLi128EEENSA_IiLi4EEEEEENS8_IJNSA_IiLi512EEESD_NSA_IiLi1EEEEEELb0EEEEEENS8_IJNS2_IJLi0EEEEEEENS8_IJNS2_IJLi1ELi2ELi3EEEEEEESM_NSA_IlLl8192EEEEESQ_Li4ELi4ELi1ENS2_IJLi8ELi2EEEESR_Li4ELi4ELb0EE3RunINS7_INS8_IJNS_7UnMergeINS8_IJNSA_IiLi2EEESD_SV_SD_EEELb0EEEEEESL_NS8_IJNS2_IJLi1ELi2ELi3ELi4EEEEEEESZ_NSA_IlLl64EEEEENS_13DynamicBufferILNS_16AddressSpaceEnumE2EaSO_Lb1ELNS_22AmdBufferCoherenceEnumE0EiEES16_NS_12StaticBufferILS14_4EiLi64ELb1EEEEEvRKT_RKT0_RKT1_RT2_EUlS19_E_EEvS19_@rel32@lo+4
	s_addc_u32 s7, s7, _ZNK2ck6detail15static_for_implINS_8SequenceIJLi1ELi2ELi3ELi4ELi5ELi6ELi7ELi8ELi9ELi10ELi11ELi12ELi13ELi14ELi15EEEEEclIZNKS_80BlockwiseGemmDl_A_BK0_BM_BK1_B_BK0_BN_BK1_C_BM0_BM1_BN0_BN1_pipeline_BM0_2_BN0_2ILi256EaaiKNS_16TensorDescriptorINS_5TupleIJNS_5EmbedINS8_IJNS_17integral_constantIiLi16EEENSA_IiLi128EEENSA_IiLi4EEEEEENS8_IJNSA_IiLi512EEESD_NSA_IiLi1EEEEEELb0EEEEEENS8_IJNS2_IJLi0EEEEEEENS8_IJNS2_IJLi1ELi2ELi3EEEEEEESM_NSA_IlLl8192EEEEESQ_Li4ELi4ELi1ENS2_IJLi8ELi2EEEESR_Li4ELi4ELb0EE3RunINS7_INS8_IJNS_7UnMergeINS8_IJNSA_IiLi2EEESD_SV_SD_EEELb0EEEEEESL_NS8_IJNS2_IJLi1ELi2ELi3ELi4EEEEEEESZ_NSA_IlLl64EEEEENS_13DynamicBufferILNS_16AddressSpaceEnumE2EaSO_Lb1ELNS_22AmdBufferCoherenceEnumE0EiEES16_NS_12StaticBufferILS14_4EiLi64ELb1EEEEEvRKT_RKT0_RKT1_RT2_EUlS19_E_EEvS19_@rel32@hi+12
	s_waitcnt vmcnt(15)
	v_and_b32_sdwa v1, v0, s4 dst_sel:DWORD dst_unused:UNUSED_PAD src0_sel:WORD_1 src1_sel:DWORD
	s_waitcnt vmcnt(14)
	v_and_b32_sdwa v2, v7, s5 dst_sel:DWORD dst_unused:UNUSED_PAD src0_sel:WORD_1 src1_sel:DWORD
	v_or_b32_sdwa v3, v0, v2 dst_sel:DWORD dst_unused:UNUSED_PAD src0_sel:BYTE_3 src1_sel:DWORD
	v_mov_b32_e32 v2, 8
	v_lshlrev_b16_sdwa v21, v2, v7 dst_sel:DWORD dst_unused:UNUSED_PAD src0_sel:DWORD src1_sel:WORD_1
	s_waitcnt vmcnt(12)
	v_lshlrev_b16_sdwa v24, v2, v11 dst_sel:DWORD dst_unused:UNUSED_PAD src0_sel:DWORD src1_sel:WORD_1
	v_or_b32_e32 v21, v1, v21
	s_waitcnt vmcnt(11)
	v_lshlrev_b16_sdwa v26, v2, v12 dst_sel:DWORD dst_unused:UNUSED_PAD src0_sel:DWORD src1_sel:WORD_1
	v_and_b32_e32 v1, 0xffffff00, v7
	s_waitcnt vmcnt(9)
	v_lshlrev_b16_sdwa v29, v2, v8 dst_sel:DWORD dst_unused:UNUSED_PAD src0_sel:DWORD src1_sel:WORD_1
	v_and_b32_sdwa v22, v10, s4 dst_sel:DWORD dst_unused:UNUSED_PAD src0_sel:WORD_1 src1_sel:DWORD
	v_or_b32_sdwa v1, v0, v1 dst_sel:DWORD dst_unused:UNUSED_PAD src0_sel:BYTE_1 src1_sel:DWORD
	v_and_b32_sdwa v23, v11, s5 dst_sel:DWORD dst_unused:UNUSED_PAD src0_sel:WORD_1 src1_sel:DWORD
	v_or_b32_sdwa v22, v22, v24 dst_sel:WORD_1 dst_unused:UNUSED_PAD src0_sel:DWORD src1_sel:DWORD
	v_and_b32_e32 v24, 0xffffff00, v11
	v_or_b32_sdwa v23, v10, v23 dst_sel:WORD_1 dst_unused:UNUSED_PAD src0_sel:BYTE_3 src1_sel:DWORD
	v_or_b32_sdwa v24, v10, v24 dst_sel:WORD_1 dst_unused:UNUSED_PAD src0_sel:BYTE_1 src1_sel:DWORD
	v_and_b32_sdwa v27, v13, s4 dst_sel:DWORD dst_unused:UNUSED_PAD src0_sel:WORD_1 src1_sel:DWORD
	s_waitcnt vmcnt(8)
	v_and_b32_sdwa v30, v9, s4 dst_sel:DWORD dst_unused:UNUSED_PAD src0_sel:WORD_1 src1_sel:DWORD
	s_waitcnt vmcnt(6)
	v_lshlrev_b16_sdwa v33, v2, v14 dst_sel:DWORD dst_unused:UNUSED_PAD src0_sel:DWORD src1_sel:WORD_1
	s_waitcnt vmcnt(4)
	v_lshlrev_b16_sdwa v38, v2, v18 dst_sel:DWORD dst_unused:UNUSED_PAD src0_sel:DWORD src1_sel:WORD_1
	v_or_b32_sdwa v1, v1, v24 dst_sel:DWORD dst_unused:UNUSED_PAD src0_sel:WORD_0 src1_sel:DWORD
	v_or_b32_sdwa v3, v3, v23 dst_sel:DWORD dst_unused:UNUSED_PAD src0_sel:WORD_0 src1_sel:DWORD
	s_waitcnt vmcnt(3)
	v_lshlrev_b16_sdwa v40, v2, v19 dst_sel:DWORD dst_unused:UNUSED_PAD src0_sel:DWORD src1_sel:WORD_1
	v_and_b32_sdwa v25, v12, s5 dst_sel:DWORD dst_unused:UNUSED_PAD src0_sel:WORD_1 src1_sel:DWORD
	s_waitcnt vmcnt(1)
	v_lshlrev_b16_sdwa v2, v2, v15 dst_sel:DWORD dst_unused:UNUSED_PAD src0_sel:DWORD src1_sel:WORD_1
	s_waitcnt vmcnt(0)
	v_and_b32_sdwa v43, v16, s4 dst_sel:DWORD dst_unused:UNUSED_PAD src0_sel:WORD_1 src1_sel:DWORD
	v_or_b32_e32 v43, v43, v2
	v_and_b32_e32 v2, 0xffffff00, v15
	v_or_b32_sdwa v44, v16, v2 dst_sel:DWORD dst_unused:UNUSED_PAD src0_sel:BYTE_1 src1_sel:DWORD
	v_lshlrev_b16_e32 v2, 8, v7
	v_or_b32_sdwa v0, v0, v2 dst_sel:DWORD dst_unused:UNUSED_PAD src0_sel:BYTE_0 src1_sel:DWORD
	v_lshlrev_b16_e32 v2, 8, v11
	v_or_b32_sdwa v2, v10, v2 dst_sel:WORD_1 dst_unused:UNUSED_PAD src0_sel:BYTE_0 src1_sel:DWORD
	v_or_b32_sdwa v0, v0, v2 dst_sel:DWORD dst_unused:UNUSED_PAD src0_sel:WORD_0 src1_sel:DWORD
	v_or_b32_sdwa v2, v21, v22 dst_sel:DWORD dst_unused:UNUSED_PAD src0_sel:WORD_0 src1_sel:DWORD
	v_or_b32_sdwa v26, v27, v26 dst_sel:WORD_1 dst_unused:UNUSED_PAD src0_sel:DWORD src1_sel:DWORD
	v_and_b32_e32 v27, 0xffffff00, v12
	v_and_b32_sdwa v28, v8, s5 dst_sel:DWORD dst_unused:UNUSED_PAD src0_sel:WORD_1 src1_sel:DWORD
	v_or_b32_e32 v29, v30, v29
	v_and_b32_e32 v30, 0xffffff00, v8
	ds_write_b128 v4, v[0:3]
	v_lshlrev_b16_e32 v0, 8, v8
	v_lshlrev_b16_e32 v1, 8, v12
	v_or_b32_sdwa v25, v13, v25 dst_sel:WORD_1 dst_unused:UNUSED_PAD src0_sel:BYTE_3 src1_sel:DWORD
	v_or_b32_sdwa v27, v13, v27 dst_sel:WORD_1 dst_unused:UNUSED_PAD src0_sel:BYTE_1 src1_sel:DWORD
	v_or_b32_sdwa v28, v9, v28 dst_sel:DWORD dst_unused:UNUSED_PAD src0_sel:BYTE_3 src1_sel:DWORD
	v_or_b32_sdwa v30, v9, v30 dst_sel:DWORD dst_unused:UNUSED_PAD src0_sel:BYTE_1 src1_sel:DWORD
	v_or_b32_sdwa v0, v9, v0 dst_sel:DWORD dst_unused:UNUSED_PAD src0_sel:BYTE_0 src1_sel:DWORD
	v_or_b32_sdwa v1, v13, v1 dst_sel:WORD_1 dst_unused:UNUSED_PAD src0_sel:BYTE_0 src1_sel:DWORD
	v_and_b32_sdwa v31, v5, s4 dst_sel:DWORD dst_unused:UNUSED_PAD src0_sel:WORD_1 src1_sel:DWORD
	v_and_b32_sdwa v36, v17, s4 dst_sel:DWORD dst_unused:UNUSED_PAD src0_sel:WORD_1 src1_sel:DWORD
	v_or_b32_sdwa v0, v0, v1 dst_sel:DWORD dst_unused:UNUSED_PAD src0_sel:WORD_0 src1_sel:DWORD
	v_or_b32_sdwa v1, v30, v27 dst_sel:DWORD dst_unused:UNUSED_PAD src0_sel:WORD_0 src1_sel:DWORD
	;; [unrolled: 1-line block ×4, first 2 shown]
	v_and_b32_sdwa v32, v14, s5 dst_sel:DWORD dst_unused:UNUSED_PAD src0_sel:WORD_1 src1_sel:DWORD
	v_or_b32_e32 v31, v31, v33
	v_and_b32_e32 v33, 0xffffff00, v14
	v_and_b32_sdwa v37, v18, s5 dst_sel:DWORD dst_unused:UNUSED_PAD src0_sel:WORD_1 src1_sel:DWORD
	v_or_b32_sdwa v36, v36, v38 dst_sel:WORD_1 dst_unused:UNUSED_PAD src0_sel:DWORD src1_sel:DWORD
	v_and_b32_e32 v38, 0xffffff00, v18
	ds_write_b128 v4, v[0:3] offset:512
	v_lshlrev_b16_e32 v0, 8, v14
	v_lshlrev_b16_e32 v1, 8, v18
	v_or_b32_sdwa v32, v5, v32 dst_sel:DWORD dst_unused:UNUSED_PAD src0_sel:BYTE_3 src1_sel:DWORD
	v_or_b32_sdwa v33, v5, v33 dst_sel:DWORD dst_unused:UNUSED_PAD src0_sel:BYTE_1 src1_sel:DWORD
	v_or_b32_sdwa v37, v17, v37 dst_sel:WORD_1 dst_unused:UNUSED_PAD src0_sel:BYTE_3 src1_sel:DWORD
	v_or_b32_sdwa v38, v17, v38 dst_sel:WORD_1 dst_unused:UNUSED_PAD src0_sel:BYTE_1 src1_sel:DWORD
	v_or_b32_sdwa v0, v5, v0 dst_sel:DWORD dst_unused:UNUSED_PAD src0_sel:BYTE_0 src1_sel:DWORD
	v_or_b32_sdwa v1, v17, v1 dst_sel:WORD_1 dst_unused:UNUSED_PAD src0_sel:BYTE_0 src1_sel:DWORD
	v_and_b32_sdwa v41, v20, s4 dst_sel:DWORD dst_unused:UNUSED_PAD src0_sel:WORD_1 src1_sel:DWORD
	v_or_b32_sdwa v0, v0, v1 dst_sel:DWORD dst_unused:UNUSED_PAD src0_sel:WORD_0 src1_sel:DWORD
	v_or_b32_sdwa v1, v33, v38 dst_sel:DWORD dst_unused:UNUSED_PAD src0_sel:WORD_0 src1_sel:DWORD
	;; [unrolled: 1-line block ×4, first 2 shown]
	v_and_b32_sdwa v39, v19, s5 dst_sel:DWORD dst_unused:UNUSED_PAD src0_sel:WORD_1 src1_sel:DWORD
	v_or_b32_sdwa v40, v41, v40 dst_sel:WORD_1 dst_unused:UNUSED_PAD src0_sel:DWORD src1_sel:DWORD
	v_and_b32_e32 v41, 0xffffff00, v19
	v_and_b32_sdwa v42, v15, s5 dst_sel:DWORD dst_unused:UNUSED_PAD src0_sel:WORD_1 src1_sel:DWORD
	ds_write_b128 v4, v[0:3] offset:16384
	v_lshlrev_b16_e32 v0, 8, v15
	v_lshlrev_b16_e32 v1, 8, v19
	v_or_b32_sdwa v39, v20, v39 dst_sel:WORD_1 dst_unused:UNUSED_PAD src0_sel:BYTE_3 src1_sel:DWORD
	v_or_b32_sdwa v41, v20, v41 dst_sel:WORD_1 dst_unused:UNUSED_PAD src0_sel:BYTE_1 src1_sel:DWORD
	v_or_b32_sdwa v42, v16, v42 dst_sel:DWORD dst_unused:UNUSED_PAD src0_sel:BYTE_3 src1_sel:DWORD
	v_or_b32_sdwa v0, v16, v0 dst_sel:DWORD dst_unused:UNUSED_PAD src0_sel:BYTE_0 src1_sel:DWORD
	v_or_b32_sdwa v1, v20, v1 dst_sel:WORD_1 dst_unused:UNUSED_PAD src0_sel:BYTE_0 src1_sel:DWORD
	v_or_b32_sdwa v0, v0, v1 dst_sel:DWORD dst_unused:UNUSED_PAD src0_sel:WORD_0 src1_sel:DWORD
	v_or_b32_sdwa v1, v44, v41 dst_sel:DWORD dst_unused:UNUSED_PAD src0_sel:WORD_0 src1_sel:DWORD
	;; [unrolled: 1-line block ×4, first 2 shown]
	ds_write_b128 v4, v[0:3] offset:16896
	s_waitcnt lgkmcnt(0)
	s_barrier
	buffer_load_dword v0, off, s[0:3], 0 offset:80
	buffer_load_dword v1, off, s[0:3], 0 offset:400
	buffer_load_dword v2, off, s[0:3], 0 offset:404
	s_nop 0
	buffer_store_dword v6, off, s[0:3], 0
	buffer_store_dword v6, off, s[0:3], 0 offset:4
	buffer_store_dword v6, off, s[0:3], 0 offset:8
	;; [unrolled: 1-line block ×15, first 2 shown]
	buffer_load_dword v16, off, s[0:3], 0 offset:180
	buffer_load_dword v17, off, s[0:3], 0 offset:184
	;; [unrolled: 1-line block ×13, first 2 shown]
	s_mov_b64 s[4:5], src_private_base
	s_waitcnt vmcnt(31)
	v_ashrrev_i32_e32 v3, 31, v0
	s_waitcnt vmcnt(30)
	v_add_co_u32_e32 v12, vcc, v1, v0
	s_waitcnt vmcnt(29)
	v_addc_co_u32_e32 v13, vcc, v2, v3, vcc
	flat_load_dwordx4 v[0:3], v[12:13]
	s_waitcnt vmcnt(0)
	v_ashrrev_i32_e32 v7, 31, v6
	v_add_co_u32_e32 v8, vcc, v4, v6
	s_waitcnt lgkmcnt(0)
	buffer_store_dword v0, off, s[0:3], 0
	buffer_store_dword v1, off, s[0:3], 0 offset:4
	buffer_store_dword v2, off, s[0:3], 0 offset:8
	;; [unrolled: 1-line block ×3, first 2 shown]
	v_addc_co_u32_e32 v9, vcc, v5, v7, vcc
	buffer_load_dword v26, off, s[0:3], 0 offset:212
	buffer_load_dword v27, off, s[0:3], 0 offset:192
	;; [unrolled: 1-line block ×6, first 2 shown]
	flat_load_dwordx4 v[4:7], v[8:9]
	s_waitcnt vmcnt(0) lgkmcnt(0)
	buffer_store_dword v4, off, s[0:3], 0 offset:32
	buffer_store_dword v5, off, s[0:3], 0 offset:36
	;; [unrolled: 1-line block ×4, first 2 shown]
	flat_load_dwordx4 v[8:11], v[8:9] offset:256
	s_nop 0
	buffer_load_dword v32, off, s[0:3], 0 offset:176
	buffer_load_dword v33, off, s[0:3], 0 offset:208
	;; [unrolled: 1-line block ×16, first 2 shown]
	s_waitcnt vmcnt(0) lgkmcnt(0)
	buffer_store_dword v8, off, s[0:3], 0 offset:48
	buffer_store_dword v9, off, s[0:3], 0 offset:52
	;; [unrolled: 1-line block ×4, first 2 shown]
	flat_load_dwordx4 v[12:15], v[12:13] offset:256
	v_dot4c_i32_i8_e32 v25, v0, v4
	v_dot4c_i32_i8_e32 v22, v0, v5
	;; [unrolled: 1-line block ×32, first 2 shown]
	v_mov_b32_e32 v0, 64
	v_mov_b32_e32 v2, 0x190
	;; [unrolled: 1-line block ×12, first 2 shown]
	buffer_store_dword v25, off, s[0:3], 0 offset:144
	buffer_store_dword v22, off, s[0:3], 0 offset:148
	;; [unrolled: 1-line block ×32, first 2 shown]
	s_waitcnt vmcnt(0) lgkmcnt(0)
	buffer_store_dword v12, off, s[0:3], 0 offset:16
	buffer_store_dword v13, off, s[0:3], 0 offset:20
	;; [unrolled: 1-line block ×4, first 2 shown]
	s_swappc_b64 s[30:31], s[6:7]
	buffer_load_dword v0, off, s[0:3], 0 offset:32
	buffer_load_dword v1, off, s[0:3], 0 offset:36
	;; [unrolled: 1-line block ×48, first 2 shown]
	s_mov_b32 s4, 0xc0c0500
	s_mov_b32 s15, s19
	s_lshl_b32 s5, s9, 6
	s_waitcnt vmcnt(41)
	v_dot4c_i32_i8_e32 v6, v4, v0
	s_waitcnt vmcnt(40)
	v_dot4c_i32_i8_e32 v7, v4, v1
	;; [unrolled: 2-line block ×13, first 2 shown]
	v_dot4c_i32_i8_e32 v20, v24, v1
	v_dot4c_i32_i8_e32 v21, v24, v2
	v_add_u32_e32 v0, s10, v35
	v_dot4c_i32_i8_e32 v22, v24, v3
	v_mul_lo_u32 v0, v0, s9
	s_waitcnt vmcnt(18)
	v_dot4c_i32_i8_e32 v29, v4, v26
	s_waitcnt vmcnt(17)
	v_dot4c_i32_i8_e32 v30, v4, v25
	;; [unrolled: 2-line block ×14, first 2 shown]
	s_waitcnt vmcnt(3)
	v_lshlrev_b32_e32 v3, 24, v46
	s_waitcnt vmcnt(2)
	v_lshlrev_b32_e32 v2, 16, v47
	;; [unrolled: 2-line block ×3, first 2 shown]
	v_and_b32_e32 v2, 0xff0000, v2
	s_waitcnt vmcnt(0)
	v_perm_b32 v1, v1, v49, s4
	v_dot4c_i32_i8_e32 v45, v24, v23
	v_add3_u32 v0, s8, v34, v0
	v_or3_b32 v1, v1, v2, v3
	v_dot4c_i32_i8_e32 v28, v4, v27
	buffer_store_dword v6, off, s[0:3], 0 offset:272
	buffer_store_dword v7, off, s[0:3], 0 offset:276
	;; [unrolled: 1-line block ×32, first 2 shown]
	buffer_store_dword v1, v0, s[12:15], 0 offen
	buffer_load_dword v1, off, s[0:3], 0 offset:164
	s_nop 0
	buffer_load_dword v2, off, s[0:3], 0 offset:168
	buffer_load_dword v3, off, s[0:3], 0 offset:172
	;; [unrolled: 1-line block ×3, first 2 shown]
	s_waitcnt vmcnt(3)
	v_lshlrev_b32_e32 v1, 8, v1
	s_waitcnt vmcnt(2)
	v_lshlrev_b32_e32 v2, 16, v2
	;; [unrolled: 2-line block ×3, first 2 shown]
	v_and_b32_e32 v2, 0xff0000, v2
	s_waitcnt vmcnt(0)
	v_perm_b32 v1, v1, v4, s4
	v_or3_b32 v1, v1, v2, v3
	buffer_store_dword v1, v0, s[12:15], 0 offen offset:64
	buffer_load_dword v1, off, s[0:3], 0 offset:196
	s_nop 0
	buffer_load_dword v2, off, s[0:3], 0 offset:200
	buffer_load_dword v3, off, s[0:3], 0 offset:204
	;; [unrolled: 1-line block ×3, first 2 shown]
	v_add_u32_e32 v0, s9, v0
	v_add_u32_e32 v5, 64, v0
	s_waitcnt vmcnt(3)
	v_lshlrev_b32_e32 v1, 8, v1
	s_waitcnt vmcnt(2)
	v_lshlrev_b32_e32 v2, 16, v2
	;; [unrolled: 2-line block ×3, first 2 shown]
	v_and_b32_e32 v2, 0xff0000, v2
	s_waitcnt vmcnt(0)
	v_perm_b32 v1, v1, v4, s4
	v_or3_b32 v1, v1, v2, v3
	buffer_store_dword v1, v5, s[12:15], 0 offen
	buffer_load_dword v1, off, s[0:3], 0 offset:180
	s_nop 0
	buffer_load_dword v2, off, s[0:3], 0 offset:184
	buffer_load_dword v3, off, s[0:3], 0 offset:188
	;; [unrolled: 1-line block ×3, first 2 shown]
	s_waitcnt vmcnt(3)
	v_lshlrev_b32_e32 v1, 8, v1
	s_waitcnt vmcnt(2)
	v_lshlrev_b32_e32 v2, 16, v2
	;; [unrolled: 2-line block ×3, first 2 shown]
	v_and_b32_e32 v2, 0xff0000, v2
	s_waitcnt vmcnt(0)
	v_perm_b32 v1, v1, v4, s4
	v_or3_b32 v1, v1, v2, v3
	buffer_store_dword v1, v0, s[12:15], 0 offen
	buffer_load_dword v1, off, s[0:3], 0 offset:212
	s_nop 0
	buffer_load_dword v2, off, s[0:3], 0 offset:216
	buffer_load_dword v3, off, s[0:3], 0 offset:220
	;; [unrolled: 1-line block ×3, first 2 shown]
	v_add_u32_e32 v0, s9, v0
	v_add_u32_e32 v5, 64, v0
	;; [unrolled: 1-line block ×3, first 2 shown]
	s_waitcnt vmcnt(3)
	v_lshlrev_b32_e32 v1, 8, v1
	s_waitcnt vmcnt(2)
	v_lshlrev_b32_e32 v2, 16, v2
	;; [unrolled: 2-line block ×3, first 2 shown]
	v_and_b32_e32 v2, 0xff0000, v2
	s_waitcnt vmcnt(0)
	v_perm_b32 v1, v1, v4, s4
	v_or3_b32 v1, v1, v2, v3
	buffer_store_dword v1, v0, s[12:15], 0 offen
	buffer_load_dword v1, off, s[0:3], 0 offset:228
	s_nop 0
	buffer_load_dword v2, off, s[0:3], 0 offset:232
	buffer_load_dword v3, off, s[0:3], 0 offset:236
	;; [unrolled: 1-line block ×3, first 2 shown]
	s_waitcnt vmcnt(3)
	v_lshlrev_b32_e32 v1, 8, v1
	s_waitcnt vmcnt(2)
	v_lshlrev_b32_e32 v2, 16, v2
	;; [unrolled: 2-line block ×3, first 2 shown]
	v_and_b32_e32 v2, 0xff0000, v2
	s_waitcnt vmcnt(0)
	v_perm_b32 v1, v1, v4, s4
	v_or3_b32 v1, v1, v2, v3
	buffer_store_dword v1, v0, s[12:15], 0 offen offset:64
	buffer_load_dword v1, off, s[0:3], 0 offset:260
	s_nop 0
	buffer_load_dword v2, off, s[0:3], 0 offset:264
	buffer_load_dword v3, off, s[0:3], 0 offset:268
	;; [unrolled: 1-line block ×3, first 2 shown]
	v_add_u32_e32 v0, s9, v0
	s_waitcnt vmcnt(3)
	v_lshlrev_b32_e32 v1, 8, v1
	s_waitcnt vmcnt(2)
	v_lshlrev_b32_e32 v2, 16, v2
	;; [unrolled: 2-line block ×3, first 2 shown]
	v_and_b32_e32 v2, 0xff0000, v2
	s_waitcnt vmcnt(0)
	v_perm_b32 v1, v1, v4, s4
	v_or3_b32 v1, v1, v2, v3
	buffer_store_dword v1, v6, s[12:15], 0 offen
	buffer_load_dword v1, off, s[0:3], 0 offset:244
	s_nop 0
	buffer_load_dword v2, off, s[0:3], 0 offset:248
	buffer_load_dword v3, off, s[0:3], 0 offset:252
	;; [unrolled: 1-line block ×3, first 2 shown]
	s_waitcnt vmcnt(3)
	v_lshlrev_b32_e32 v1, 8, v1
	s_waitcnt vmcnt(2)
	v_lshlrev_b32_e32 v2, 16, v2
	;; [unrolled: 2-line block ×3, first 2 shown]
	v_and_b32_e32 v2, 0xff0000, v2
	s_waitcnt vmcnt(0)
	v_perm_b32 v1, v1, v4, s4
	v_or3_b32 v1, v1, v2, v3
	buffer_store_dword v1, v0, s[12:15], 0 offen
	buffer_load_dword v1, off, s[0:3], 0 offset:372
	s_nop 0
	buffer_load_dword v2, off, s[0:3], 0 offset:376
	buffer_load_dword v3, off, s[0:3], 0 offset:380
	;; [unrolled: 1-line block ×3, first 2 shown]
	v_add_u32_e32 v0, s5, v0
	s_waitcnt vmcnt(3)
	v_lshlrev_b32_e32 v1, 8, v1
	s_waitcnt vmcnt(2)
	v_lshlrev_b32_e32 v2, 16, v2
	;; [unrolled: 2-line block ×3, first 2 shown]
	v_and_b32_e32 v2, 0xff0000, v2
	s_waitcnt vmcnt(0)
	v_perm_b32 v1, v1, v4, s4
	v_or3_b32 v1, v1, v2, v3
	buffer_store_dword v1, v0, s[12:15], 0 offen
	buffer_load_dword v1, off, s[0:3], 0 offset:388
	s_nop 0
	buffer_load_dword v2, off, s[0:3], 0 offset:392
	buffer_load_dword v3, off, s[0:3], 0 offset:396
	;; [unrolled: 1-line block ×3, first 2 shown]
	s_waitcnt vmcnt(3)
	v_lshlrev_b32_e32 v1, 8, v1
	s_waitcnt vmcnt(2)
	v_lshlrev_b32_e32 v2, 16, v2
	s_waitcnt vmcnt(1)
	v_lshlrev_b32_e32 v3, 24, v3
	v_and_b32_e32 v2, 0xff0000, v2
	s_waitcnt vmcnt(0)
	v_perm_b32 v1, v1, v4, s4
	v_or3_b32 v1, v1, v2, v3
	buffer_store_dword v1, v0, s[12:15], 0 offen offset:64
	buffer_load_dword v0, off, s[0:3], 0 offset:356
	s_nop 0
	buffer_load_dword v1, off, s[0:3], 0 offset:360
	buffer_load_dword v2, off, s[0:3], 0 offset:364
	;; [unrolled: 1-line block ×3, first 2 shown]
	v_add_u32_e32 v4, s5, v5
	s_waitcnt vmcnt(3)
	v_lshlrev_b32_e32 v0, 8, v0
	s_waitcnt vmcnt(2)
	v_lshlrev_b32_e32 v1, 16, v1
	;; [unrolled: 2-line block ×3, first 2 shown]
	v_and_b32_e32 v1, 0xff0000, v1
	s_waitcnt vmcnt(0)
	v_perm_b32 v0, v0, v3, s4
	v_or3_b32 v0, v0, v1, v2
	buffer_store_dword v0, v4, s[12:15], 0 offen
	buffer_load_dword v0, off, s[0:3], 0 offset:340
	s_nop 0
	buffer_load_dword v1, off, s[0:3], 0 offset:344
	buffer_load_dword v2, off, s[0:3], 0 offset:348
	;; [unrolled: 1-line block ×3, first 2 shown]
	v_subrev_u32_e32 v4, 64, v4
	s_waitcnt vmcnt(3)
	v_lshlrev_b32_e32 v0, 8, v0
	s_waitcnt vmcnt(2)
	v_lshlrev_b32_e32 v1, 16, v1
	;; [unrolled: 2-line block ×3, first 2 shown]
	v_and_b32_e32 v1, 0xff0000, v1
	s_waitcnt vmcnt(0)
	v_perm_b32 v0, v0, v3, s4
	v_or3_b32 v0, v0, v1, v2
	buffer_store_dword v0, v4, s[12:15], 0 offen
	buffer_load_dword v0, off, s[0:3], 0 offset:308
	s_nop 0
	buffer_load_dword v1, off, s[0:3], 0 offset:312
	buffer_load_dword v2, off, s[0:3], 0 offset:316
	;; [unrolled: 1-line block ×3, first 2 shown]
	v_subrev_u32_e32 v4, s9, v4
	s_waitcnt vmcnt(3)
	v_lshlrev_b32_e32 v0, 8, v0
	s_waitcnt vmcnt(2)
	v_lshlrev_b32_e32 v1, 16, v1
	;; [unrolled: 2-line block ×3, first 2 shown]
	v_and_b32_e32 v1, 0xff0000, v1
	s_waitcnt vmcnt(0)
	v_perm_b32 v0, v0, v3, s4
	v_or3_b32 v0, v0, v1, v2
	buffer_store_dword v0, v4, s[12:15], 0 offen
	buffer_load_dword v0, off, s[0:3], 0 offset:324
	s_nop 0
	buffer_load_dword v1, off, s[0:3], 0 offset:328
	buffer_load_dword v2, off, s[0:3], 0 offset:332
	;; [unrolled: 1-line block ×3, first 2 shown]
	s_waitcnt vmcnt(3)
	v_lshlrev_b32_e32 v0, 8, v0
	s_waitcnt vmcnt(2)
	v_lshlrev_b32_e32 v1, 16, v1
	;; [unrolled: 2-line block ×3, first 2 shown]
	v_and_b32_e32 v1, 0xff0000, v1
	s_waitcnt vmcnt(0)
	v_perm_b32 v0, v0, v3, s4
	v_or3_b32 v0, v0, v1, v2
	buffer_store_dword v0, v4, s[12:15], 0 offen offset:64
	buffer_load_dword v0, off, s[0:3], 0 offset:292
	s_nop 0
	buffer_load_dword v1, off, s[0:3], 0 offset:296
	buffer_load_dword v2, off, s[0:3], 0 offset:300
	;; [unrolled: 1-line block ×3, first 2 shown]
	v_subrev_u32_e32 v4, s9, v4
	v_add_u32_e32 v5, 64, v4
	s_waitcnt vmcnt(3)
	v_lshlrev_b32_e32 v0, 8, v0
	s_waitcnt vmcnt(2)
	v_lshlrev_b32_e32 v1, 16, v1
	s_waitcnt vmcnt(1)
	v_lshlrev_b32_e32 v2, 24, v2
	v_and_b32_e32 v1, 0xff0000, v1
	s_waitcnt vmcnt(0)
	v_perm_b32 v0, v0, v3, s4
	v_or3_b32 v0, v0, v1, v2
	buffer_store_dword v0, v5, s[12:15], 0 offen
	buffer_load_dword v0, off, s[0:3], 0 offset:276
	s_nop 0
	buffer_load_dword v1, off, s[0:3], 0 offset:280
	buffer_load_dword v2, off, s[0:3], 0 offset:272
	;; [unrolled: 1-line block ×3, first 2 shown]
	s_waitcnt vmcnt(3)
	v_lshlrev_b32_e32 v0, 8, v0
	s_waitcnt vmcnt(2)
	v_lshlrev_b32_e32 v1, 16, v1
	v_and_b32_e32 v1, 0xff0000, v1
	s_waitcnt vmcnt(1)
	v_perm_b32 v0, v0, v2, s4
	s_waitcnt vmcnt(0)
	v_lshlrev_b32_e32 v2, 24, v3
	v_or3_b32 v0, v0, v1, v2
	buffer_store_dword v0, v4, s[12:15], 0 offen
	s_endpgm
	.section	.rodata,"a",@progbits
	.p2align	6, 0x0
	.amdhsa_kernel _ZN2ck19kernel_gemm_dl_v1r3INS_28GridwiseGemmDl_km_kn_mn_v1r3ILi256EaiaLNS_25InMemoryDataOperationEnumE0ENS_16TensorDescriptorINS_5TupleIJNS_5EmbedINS4_IJiiEEENS4_IJNS_17integral_constantIiLi1EEEiEEELb0EEENS_7UnMergeINS4_IJiNS7_IiLi4EEEEEELb0EEENS_11PassThroughIiEEEEENS4_IJNS_8SequenceIJLi0EEEENSI_IJLi2EEEENSI_IJLi1EEEEEEENS4_IJNSI_IJLi1ELi2EEEENSI_IJLi3ELi4EEEENSI_IJLi5EEEEEEENSI_IJLi3ELi5ELi4EEEElEENS3_INS4_IJNS5_IS6_NS4_IJiS8_EEELb0EEESE_SG_EEENS4_IJSJ_SL_SK_EEESQ_SR_lEENS3_INS4_IJSU_SG_SG_EEESW_NS4_IJSN_NSI_IJLi3EEEENSI_IJLi4EEEEEEESO_lEELi128ELi128ELi16ELi4ELi4ELi4ELi1ENSI_IJLi8ELi2EEEES13_NSI_IJLi2ELi1ELi4ELi4EEEENSI_IJLi8ELi1ELi32ELi1EEEENSI_IJLi0ELi3ELi1ELi2EEEES16_NSI_IJLi1ELi1ELi4ELi1EEEES16_NSI_IJLi1ELi1ELi4ELi4EEEES14_S15_S16_S16_S17_S16_S18_NSI_IJLi0ELi1ELi2ELi3ELi4ELi5EEEELi5ELi4EEEaaNS3_INS4_IJSA_SE_SG_SG_NSB_INS4_IJiNS7_IiLi128EEEEEELb0EEENSF_ISC_EEEEENS4_IJSJ_SK_SL_SZ_SP_S10_EEENS4_IJSN_SO_SP_NSI_IJLi6EEEENSI_IJLi7ELi8EEEENSI_IJLi9EEEEEEENSI_IJLi6ELi7ELi8ELi9EEEElEENS3_INS4_IJSU_SE_SG_SG_S1D_S1E_EEENS4_IJSJ_SL_SK_SZ_SP_S10_EEES1K_S1L_lEENS3_INS4_IJSU_SG_SG_NSB_INS4_IJiNS7_IiLi2EEENS7_IiLi64EEEEEELb0EEES1T_EEENS4_IJSJ_SL_SK_SZ_S10_EEENS4_IJSN_SZ_S10_NSI_IJLi5ELi6ELi7EEEENSI_IJLi8ELi9ELi10EEEEEEENSI_IJLi5ELi6ELi7ELi8ELi9ELi10EEEElEENS_31BlockToCTileMap_M00_N00_M01_N01ILi128ELi128ES12_Lb0EEELb0ELb0EEEvPKT0_S25_PT1_T2_T3_T4_T5_
		.amdhsa_group_segment_fixed_size 32768
		.amdhsa_private_segment_fixed_size 448
		.amdhsa_kernarg_size 328
		.amdhsa_user_sgpr_count 8
		.amdhsa_user_sgpr_private_segment_buffer 1
		.amdhsa_user_sgpr_dispatch_ptr 0
		.amdhsa_user_sgpr_queue_ptr 0
		.amdhsa_user_sgpr_kernarg_segment_ptr 1
		.amdhsa_user_sgpr_dispatch_id 0
		.amdhsa_user_sgpr_flat_scratch_init 1
		.amdhsa_user_sgpr_kernarg_preload_length 0
		.amdhsa_user_sgpr_kernarg_preload_offset 0
		.amdhsa_user_sgpr_private_segment_size 0
		.amdhsa_uses_dynamic_stack 0
		.amdhsa_system_sgpr_private_segment_wavefront_offset 1
		.amdhsa_system_sgpr_workgroup_id_x 1
		.amdhsa_system_sgpr_workgroup_id_y 0
		.amdhsa_system_sgpr_workgroup_id_z 0
		.amdhsa_system_sgpr_workgroup_info 0
		.amdhsa_system_vgpr_workitem_id 0
		.amdhsa_next_free_vgpr 50
		.amdhsa_next_free_sgpr 40
		.amdhsa_accum_offset 52
		.amdhsa_reserve_vcc 1
		.amdhsa_reserve_flat_scratch 1
		.amdhsa_float_round_mode_32 0
		.amdhsa_float_round_mode_16_64 0
		.amdhsa_float_denorm_mode_32 3
		.amdhsa_float_denorm_mode_16_64 3
		.amdhsa_dx10_clamp 1
		.amdhsa_ieee_mode 1
		.amdhsa_fp16_overflow 0
		.amdhsa_tg_split 0
		.amdhsa_exception_fp_ieee_invalid_op 0
		.amdhsa_exception_fp_denorm_src 0
		.amdhsa_exception_fp_ieee_div_zero 0
		.amdhsa_exception_fp_ieee_overflow 0
		.amdhsa_exception_fp_ieee_underflow 0
		.amdhsa_exception_fp_ieee_inexact 0
		.amdhsa_exception_int_div_zero 0
	.end_amdhsa_kernel
	.section	.text._ZN2ck19kernel_gemm_dl_v1r3INS_28GridwiseGemmDl_km_kn_mn_v1r3ILi256EaiaLNS_25InMemoryDataOperationEnumE0ENS_16TensorDescriptorINS_5TupleIJNS_5EmbedINS4_IJiiEEENS4_IJNS_17integral_constantIiLi1EEEiEEELb0EEENS_7UnMergeINS4_IJiNS7_IiLi4EEEEEELb0EEENS_11PassThroughIiEEEEENS4_IJNS_8SequenceIJLi0EEEENSI_IJLi2EEEENSI_IJLi1EEEEEEENS4_IJNSI_IJLi1ELi2EEEENSI_IJLi3ELi4EEEENSI_IJLi5EEEEEEENSI_IJLi3ELi5ELi4EEEElEENS3_INS4_IJNS5_IS6_NS4_IJiS8_EEELb0EEESE_SG_EEENS4_IJSJ_SL_SK_EEESQ_SR_lEENS3_INS4_IJSU_SG_SG_EEESW_NS4_IJSN_NSI_IJLi3EEEENSI_IJLi4EEEEEEESO_lEELi128ELi128ELi16ELi4ELi4ELi4ELi1ENSI_IJLi8ELi2EEEES13_NSI_IJLi2ELi1ELi4ELi4EEEENSI_IJLi8ELi1ELi32ELi1EEEENSI_IJLi0ELi3ELi1ELi2EEEES16_NSI_IJLi1ELi1ELi4ELi1EEEES16_NSI_IJLi1ELi1ELi4ELi4EEEES14_S15_S16_S16_S17_S16_S18_NSI_IJLi0ELi1ELi2ELi3ELi4ELi5EEEELi5ELi4EEEaaNS3_INS4_IJSA_SE_SG_SG_NSB_INS4_IJiNS7_IiLi128EEEEEELb0EEENSF_ISC_EEEEENS4_IJSJ_SK_SL_SZ_SP_S10_EEENS4_IJSN_SO_SP_NSI_IJLi6EEEENSI_IJLi7ELi8EEEENSI_IJLi9EEEEEEENSI_IJLi6ELi7ELi8ELi9EEEElEENS3_INS4_IJSU_SE_SG_SG_S1D_S1E_EEENS4_IJSJ_SL_SK_SZ_SP_S10_EEES1K_S1L_lEENS3_INS4_IJSU_SG_SG_NSB_INS4_IJiNS7_IiLi2EEENS7_IiLi64EEEEEELb0EEES1T_EEENS4_IJSJ_SL_SK_SZ_S10_EEENS4_IJSN_SZ_S10_NSI_IJLi5ELi6ELi7EEEENSI_IJLi8ELi9ELi10EEEEEEENSI_IJLi5ELi6ELi7ELi8ELi9ELi10EEEElEENS_31BlockToCTileMap_M00_N00_M01_N01ILi128ELi128ES12_Lb0EEELb0ELb0EEEvPKT0_S25_PT1_T2_T3_T4_T5_,"axG",@progbits,_ZN2ck19kernel_gemm_dl_v1r3INS_28GridwiseGemmDl_km_kn_mn_v1r3ILi256EaiaLNS_25InMemoryDataOperationEnumE0ENS_16TensorDescriptorINS_5TupleIJNS_5EmbedINS4_IJiiEEENS4_IJNS_17integral_constantIiLi1EEEiEEELb0EEENS_7UnMergeINS4_IJiNS7_IiLi4EEEEEELb0EEENS_11PassThroughIiEEEEENS4_IJNS_8SequenceIJLi0EEEENSI_IJLi2EEEENSI_IJLi1EEEEEEENS4_IJNSI_IJLi1ELi2EEEENSI_IJLi3ELi4EEEENSI_IJLi5EEEEEEENSI_IJLi3ELi5ELi4EEEElEENS3_INS4_IJNS5_IS6_NS4_IJiS8_EEELb0EEESE_SG_EEENS4_IJSJ_SL_SK_EEESQ_SR_lEENS3_INS4_IJSU_SG_SG_EEESW_NS4_IJSN_NSI_IJLi3EEEENSI_IJLi4EEEEEEESO_lEELi128ELi128ELi16ELi4ELi4ELi4ELi1ENSI_IJLi8ELi2EEEES13_NSI_IJLi2ELi1ELi4ELi4EEEENSI_IJLi8ELi1ELi32ELi1EEEENSI_IJLi0ELi3ELi1ELi2EEEES16_NSI_IJLi1ELi1ELi4ELi1EEEES16_NSI_IJLi1ELi1ELi4ELi4EEEES14_S15_S16_S16_S17_S16_S18_NSI_IJLi0ELi1ELi2ELi3ELi4ELi5EEEELi5ELi4EEEaaNS3_INS4_IJSA_SE_SG_SG_NSB_INS4_IJiNS7_IiLi128EEEEEELb0EEENSF_ISC_EEEEENS4_IJSJ_SK_SL_SZ_SP_S10_EEENS4_IJSN_SO_SP_NSI_IJLi6EEEENSI_IJLi7ELi8EEEENSI_IJLi9EEEEEEENSI_IJLi6ELi7ELi8ELi9EEEElEENS3_INS4_IJSU_SE_SG_SG_S1D_S1E_EEENS4_IJSJ_SL_SK_SZ_SP_S10_EEES1K_S1L_lEENS3_INS4_IJSU_SG_SG_NSB_INS4_IJiNS7_IiLi2EEENS7_IiLi64EEEEEELb0EEES1T_EEENS4_IJSJ_SL_SK_SZ_S10_EEENS4_IJSN_SZ_S10_NSI_IJLi5ELi6ELi7EEEENSI_IJLi8ELi9ELi10EEEEEEENSI_IJLi5ELi6ELi7ELi8ELi9ELi10EEEElEENS_31BlockToCTileMap_M00_N00_M01_N01ILi128ELi128ES12_Lb0EEELb0ELb0EEEvPKT0_S25_PT1_T2_T3_T4_T5_,comdat
.Lfunc_end5:
	.size	_ZN2ck19kernel_gemm_dl_v1r3INS_28GridwiseGemmDl_km_kn_mn_v1r3ILi256EaiaLNS_25InMemoryDataOperationEnumE0ENS_16TensorDescriptorINS_5TupleIJNS_5EmbedINS4_IJiiEEENS4_IJNS_17integral_constantIiLi1EEEiEEELb0EEENS_7UnMergeINS4_IJiNS7_IiLi4EEEEEELb0EEENS_11PassThroughIiEEEEENS4_IJNS_8SequenceIJLi0EEEENSI_IJLi2EEEENSI_IJLi1EEEEEEENS4_IJNSI_IJLi1ELi2EEEENSI_IJLi3ELi4EEEENSI_IJLi5EEEEEEENSI_IJLi3ELi5ELi4EEEElEENS3_INS4_IJNS5_IS6_NS4_IJiS8_EEELb0EEESE_SG_EEENS4_IJSJ_SL_SK_EEESQ_SR_lEENS3_INS4_IJSU_SG_SG_EEESW_NS4_IJSN_NSI_IJLi3EEEENSI_IJLi4EEEEEEESO_lEELi128ELi128ELi16ELi4ELi4ELi4ELi1ENSI_IJLi8ELi2EEEES13_NSI_IJLi2ELi1ELi4ELi4EEEENSI_IJLi8ELi1ELi32ELi1EEEENSI_IJLi0ELi3ELi1ELi2EEEES16_NSI_IJLi1ELi1ELi4ELi1EEEES16_NSI_IJLi1ELi1ELi4ELi4EEEES14_S15_S16_S16_S17_S16_S18_NSI_IJLi0ELi1ELi2ELi3ELi4ELi5EEEELi5ELi4EEEaaNS3_INS4_IJSA_SE_SG_SG_NSB_INS4_IJiNS7_IiLi128EEEEEELb0EEENSF_ISC_EEEEENS4_IJSJ_SK_SL_SZ_SP_S10_EEENS4_IJSN_SO_SP_NSI_IJLi6EEEENSI_IJLi7ELi8EEEENSI_IJLi9EEEEEEENSI_IJLi6ELi7ELi8ELi9EEEElEENS3_INS4_IJSU_SE_SG_SG_S1D_S1E_EEENS4_IJSJ_SL_SK_SZ_SP_S10_EEES1K_S1L_lEENS3_INS4_IJSU_SG_SG_NSB_INS4_IJiNS7_IiLi2EEENS7_IiLi64EEEEEELb0EEES1T_EEENS4_IJSJ_SL_SK_SZ_S10_EEENS4_IJSN_SZ_S10_NSI_IJLi5ELi6ELi7EEEENSI_IJLi8ELi9ELi10EEEEEEENSI_IJLi5ELi6ELi7ELi8ELi9ELi10EEEElEENS_31BlockToCTileMap_M00_N00_M01_N01ILi128ELi128ES12_Lb0EEELb0ELb0EEEvPKT0_S25_PT1_T2_T3_T4_T5_, .Lfunc_end5-_ZN2ck19kernel_gemm_dl_v1r3INS_28GridwiseGemmDl_km_kn_mn_v1r3ILi256EaiaLNS_25InMemoryDataOperationEnumE0ENS_16TensorDescriptorINS_5TupleIJNS_5EmbedINS4_IJiiEEENS4_IJNS_17integral_constantIiLi1EEEiEEELb0EEENS_7UnMergeINS4_IJiNS7_IiLi4EEEEEELb0EEENS_11PassThroughIiEEEEENS4_IJNS_8SequenceIJLi0EEEENSI_IJLi2EEEENSI_IJLi1EEEEEEENS4_IJNSI_IJLi1ELi2EEEENSI_IJLi3ELi4EEEENSI_IJLi5EEEEEEENSI_IJLi3ELi5ELi4EEEElEENS3_INS4_IJNS5_IS6_NS4_IJiS8_EEELb0EEESE_SG_EEENS4_IJSJ_SL_SK_EEESQ_SR_lEENS3_INS4_IJSU_SG_SG_EEESW_NS4_IJSN_NSI_IJLi3EEEENSI_IJLi4EEEEEEESO_lEELi128ELi128ELi16ELi4ELi4ELi4ELi1ENSI_IJLi8ELi2EEEES13_NSI_IJLi2ELi1ELi4ELi4EEEENSI_IJLi8ELi1ELi32ELi1EEEENSI_IJLi0ELi3ELi1ELi2EEEES16_NSI_IJLi1ELi1ELi4ELi1EEEES16_NSI_IJLi1ELi1ELi4ELi4EEEES14_S15_S16_S16_S17_S16_S18_NSI_IJLi0ELi1ELi2ELi3ELi4ELi5EEEELi5ELi4EEEaaNS3_INS4_IJSA_SE_SG_SG_NSB_INS4_IJiNS7_IiLi128EEEEEELb0EEENSF_ISC_EEEEENS4_IJSJ_SK_SL_SZ_SP_S10_EEENS4_IJSN_SO_SP_NSI_IJLi6EEEENSI_IJLi7ELi8EEEENSI_IJLi9EEEEEEENSI_IJLi6ELi7ELi8ELi9EEEElEENS3_INS4_IJSU_SE_SG_SG_S1D_S1E_EEENS4_IJSJ_SL_SK_SZ_SP_S10_EEES1K_S1L_lEENS3_INS4_IJSU_SG_SG_NSB_INS4_IJiNS7_IiLi2EEENS7_IiLi64EEEEEELb0EEES1T_EEENS4_IJSJ_SL_SK_SZ_S10_EEENS4_IJSN_SZ_S10_NSI_IJLi5ELi6ELi7EEEENSI_IJLi8ELi9ELi10EEEEEEENSI_IJLi5ELi6ELi7ELi8ELi9ELi10EEEElEENS_31BlockToCTileMap_M00_N00_M01_N01ILi128ELi128ES12_Lb0EEELb0ELb0EEEvPKT0_S25_PT1_T2_T3_T4_T5_
                                        ; -- End function
	.section	.AMDGPU.csdata,"",@progbits
; Kernel info:
; codeLenInByte = 5664
; NumSgprs: 46
; NumVgprs: 50
; NumAgprs: 0
; TotalNumVgprs: 50
; ScratchSize: 448
; MemoryBound: 0
; FloatMode: 240
; IeeeMode: 1
; LDSByteSize: 32768 bytes/workgroup (compile time only)
; SGPRBlocks: 5
; VGPRBlocks: 6
; NumSGPRsForWavesPerEU: 46
; NumVGPRsForWavesPerEU: 50
; AccumOffset: 52
; Occupancy: 2
; WaveLimiterHint : 1
; COMPUTE_PGM_RSRC2:SCRATCH_EN: 1
; COMPUTE_PGM_RSRC2:USER_SGPR: 8
; COMPUTE_PGM_RSRC2:TRAP_HANDLER: 0
; COMPUTE_PGM_RSRC2:TGID_X_EN: 1
; COMPUTE_PGM_RSRC2:TGID_Y_EN: 0
; COMPUTE_PGM_RSRC2:TGID_Z_EN: 0
; COMPUTE_PGM_RSRC2:TIDIG_COMP_CNT: 0
; COMPUTE_PGM_RSRC3_GFX90A:ACCUM_OFFSET: 12
; COMPUTE_PGM_RSRC3_GFX90A:TG_SPLIT: 0
	.section	.text._ZN2ck17naive_gemm_kernelINS_13tensor_layout4gemm11ColumnMajorENS2_8RowMajorES4_aaaiNS_16tensor_operation12element_wise11PassThroughES7_S7_aaEEvPKT2_PKT3_PT4_iiiT6_T7_T8_,"axG",@progbits,_ZN2ck17naive_gemm_kernelINS_13tensor_layout4gemm11ColumnMajorENS2_8RowMajorES4_aaaiNS_16tensor_operation12element_wise11PassThroughES7_S7_aaEEvPKT2_PKT3_PT4_iiiT6_T7_T8_,comdat
	.protected	_ZN2ck17naive_gemm_kernelINS_13tensor_layout4gemm11ColumnMajorENS2_8RowMajorES4_aaaiNS_16tensor_operation12element_wise11PassThroughES7_S7_aaEEvPKT2_PKT3_PT4_iiiT6_T7_T8_ ; -- Begin function _ZN2ck17naive_gemm_kernelINS_13tensor_layout4gemm11ColumnMajorENS2_8RowMajorES4_aaaiNS_16tensor_operation12element_wise11PassThroughES7_S7_aaEEvPKT2_PKT3_PT4_iiiT6_T7_T8_
	.globl	_ZN2ck17naive_gemm_kernelINS_13tensor_layout4gemm11ColumnMajorENS2_8RowMajorES4_aaaiNS_16tensor_operation12element_wise11PassThroughES7_S7_aaEEvPKT2_PKT3_PT4_iiiT6_T7_T8_
	.p2align	8
	.type	_ZN2ck17naive_gemm_kernelINS_13tensor_layout4gemm11ColumnMajorENS2_8RowMajorES4_aaaiNS_16tensor_operation12element_wise11PassThroughES7_S7_aaEEvPKT2_PKT3_PT4_iiiT6_T7_T8_,@function
_ZN2ck17naive_gemm_kernelINS_13tensor_layout4gemm11ColumnMajorENS2_8RowMajorES4_aaaiNS_16tensor_operation12element_wise11PassThroughES7_S7_aaEEvPKT2_PKT3_PT4_iiiT6_T7_T8_: ; @_ZN2ck17naive_gemm_kernelINS_13tensor_layout4gemm11ColumnMajorENS2_8RowMajorES4_aaaiNS_16tensor_operation12element_wise11PassThroughES7_S7_aaEEvPKT2_PKT3_PT4_iiiT6_T7_T8_
; %bb.0:
	s_load_dword s0, s[4:5], 0x34
	s_load_dwordx4 s[8:11], s[4:5], 0x18
	v_and_b32_e32 v2, 0x3ff, v0
	v_bfe_u32 v3, v0, 10, 10
	s_waitcnt lgkmcnt(0)
	s_lshr_b32 s1, s0, 16
	s_and_b32 s0, s0, 0xffff
	s_mul_i32 s11, s6, s0
	s_mul_i32 s14, s7, s1
	v_add_u32_e32 v1, s11, v2
	v_add_u32_e32 v0, s14, v3
	v_cmp_gt_i32_e32 vcc, s8, v1
	v_cmp_gt_i32_e64 s[0:1], s9, v0
	s_and_b64 s[0:1], vcc, s[0:1]
	s_and_saveexec_b64 s[2:3], s[0:1]
	s_cbranch_execz .LBB6_15
; %bb.1:
	s_load_dwordx2 s[2:3], s[4:5], 0x10
	s_cmp_lt_i32 s10, 1
	s_cbranch_scc1 .LBB6_7
; %bb.2:
	s_load_dwordx4 s[4:7], s[4:5], 0x0
	s_cmp_lt_u32 s10, 6
	s_cselect_b64 s[0:1], -1, 0
	s_cmp_gt_u32 s10, 5
	v_mov_b32_e32 v4, 0
	s_cbranch_scc0 .LBB6_8
; %bb.3:
	s_cmp_eq_u32 s8, 1
	s_cselect_b64 s[12:13], -1, 0
	s_add_i32 s0, s10, -1
	s_cmp_eq_u32 s9, 1
	v_add_u32_e32 v4, s0, v1
	s_cselect_b64 s[16:17], -1, 0
	v_cmp_ge_i32_e32 vcc, v4, v1
	v_add_u32_e32 v4, s0, v0
	s_and_b64 s[12:13], s[12:13], s[16:17]
	v_cmp_ge_i32_e64 s[0:1], v4, v0
	s_and_b64 s[12:13], s[12:13], vcc
	s_and_b64 s[16:17], s[12:13], s[0:1]
	s_mov_b64 s[0:1], -1
	v_mov_b32_e32 v4, 0
	v_mov_b32_e32 v6, 0
	s_and_saveexec_b64 s[12:13], s[16:17]
	s_cbranch_execz .LBB6_9
; %bb.4:
	s_and_b32 s15, s10, 0x7ffffffe
	v_mov_b32_e32 v4, 0
	s_waitcnt lgkmcnt(0)
	v_mov_b32_e32 v5, s5
	v_mov_b32_e32 v6, s7
	s_mov_b32 s16, s15
	v_mov_b32_e32 v7, v0
	v_mov_b32_e32 v8, v1
	;; [unrolled: 1-line block ×3, first 2 shown]
.LBB6_5:                                ; =>This Inner Loop Header: Depth=1
	v_ashrrev_i32_e32 v11, 31, v8
	v_add_co_u32_e64 v12, s[0:1], s4, v8
	v_ashrrev_i32_e32 v14, 31, v7
	v_add_co_u32_e32 v10, vcc, s6, v7
	v_addc_co_u32_e64 v13, s[0:1], v5, v11, s[0:1]
	v_addc_co_u32_e32 v11, vcc, v6, v14, vcc
	global_load_ushort v14, v[12:13], off
	global_load_ushort v15, v[10:11], off
	s_add_i32 s16, s16, -2
	v_add_u32_e32 v8, 2, v8
	v_add_u32_e32 v7, 2, v7
	s_cmp_lg_u32 s16, 0
	s_waitcnt vmcnt(1)
	v_and_b32_e32 v10, 0xff, v14
	v_lshrrev_b16_e32 v11, 8, v14
	s_waitcnt vmcnt(0)
	v_and_b32_e32 v12, 0xff, v15
	v_lshrrev_b16_e32 v13, 8, v15
	v_mad_u32_u24 v9, v13, v11, v9
	v_mad_u32_u24 v4, v12, v10, v4
	s_cbranch_scc1 .LBB6_5
; %bb.6:
	s_cmp_lg_u32 s15, s10
	s_cselect_b64 s[0:1], -1, 0
	v_add_u32_e32 v4, v4, v9
	v_mov_b32_e32 v6, s15
	s_orn2_b64 s[0:1], s[0:1], exec
	s_or_b64 exec, exec, s[12:13]
	s_and_saveexec_b64 s[12:13], s[0:1]
	s_cbranch_execnz .LBB6_10
	s_branch .LBB6_13
.LBB6_7:
	v_mov_b32_e32 v4, 0
	s_branch .LBB6_14
.LBB6_8:
	v_mov_b32_e32 v6, 0
	s_and_saveexec_b64 s[12:13], s[0:1]
	s_cbranch_execnz .LBB6_10
	s_branch .LBB6_13
.LBB6_9:
	s_or_b64 exec, exec, s[12:13]
	s_and_saveexec_b64 s[12:13], s[0:1]
	s_cbranch_execz .LBB6_13
.LBB6_10:
	v_sub_u32_e32 v5, s10, v6
	v_mul_lo_u32 v7, v6, s9
	v_mul_lo_u32 v6, v6, s8
	v_add3_u32 v3, v3, v7, s14
	v_add3_u32 v2, v2, v6, s11
	s_mov_b64 s[10:11], 0
	s_waitcnt lgkmcnt(0)
	v_mov_b32_e32 v6, s5
	v_mov_b32_e32 v7, s7
.LBB6_11:                               ; =>This Inner Loop Header: Depth=1
	v_ashrrev_i32_e32 v9, 31, v2
	v_add_co_u32_e64 v10, s[0:1], s4, v2
	v_ashrrev_i32_e32 v12, 31, v3
	v_add_co_u32_e32 v8, vcc, s6, v3
	v_addc_co_u32_e64 v11, s[0:1], v6, v9, s[0:1]
	v_addc_co_u32_e32 v9, vcc, v7, v12, vcc
	global_load_ubyte v12, v[10:11], off
	global_load_ubyte v13, v[8:9], off
	v_add_u32_e32 v5, -1, v5
	v_cmp_eq_u32_e32 vcc, 0, v5
	v_add_u32_e32 v3, s9, v3
	v_add_u32_e32 v2, s8, v2
	s_or_b64 s[10:11], vcc, s[10:11]
	s_waitcnt vmcnt(0)
	v_mad_u32_u24 v4, v13, v12, v4
	s_andn2_b64 exec, exec, s[10:11]
	s_cbranch_execnz .LBB6_11
; %bb.12:
	s_or_b64 exec, exec, s[10:11]
.LBB6_13:
	s_or_b64 exec, exec, s[12:13]
.LBB6_14:
	v_mad_u64_u32 v[0:1], s[0:1], v1, s9, v[0:1]
	v_ashrrev_i32_e32 v1, 31, v0
	s_waitcnt lgkmcnt(0)
	v_mov_b32_e32 v2, s3
	v_add_co_u32_e32 v0, vcc, s2, v0
	v_addc_co_u32_e32 v1, vcc, v2, v1, vcc
	global_store_byte v[0:1], v4, off
.LBB6_15:
	s_endpgm
	.section	.rodata,"a",@progbits
	.p2align	6, 0x0
	.amdhsa_kernel _ZN2ck17naive_gemm_kernelINS_13tensor_layout4gemm11ColumnMajorENS2_8RowMajorES4_aaaiNS_16tensor_operation12element_wise11PassThroughES7_S7_aaEEvPKT2_PKT3_PT4_iiiT6_T7_T8_
		.amdhsa_group_segment_fixed_size 0
		.amdhsa_private_segment_fixed_size 0
		.amdhsa_kernarg_size 296
		.amdhsa_user_sgpr_count 6
		.amdhsa_user_sgpr_private_segment_buffer 1
		.amdhsa_user_sgpr_dispatch_ptr 0
		.amdhsa_user_sgpr_queue_ptr 0
		.amdhsa_user_sgpr_kernarg_segment_ptr 1
		.amdhsa_user_sgpr_dispatch_id 0
		.amdhsa_user_sgpr_flat_scratch_init 0
		.amdhsa_user_sgpr_kernarg_preload_length 0
		.amdhsa_user_sgpr_kernarg_preload_offset 0
		.amdhsa_user_sgpr_private_segment_size 0
		.amdhsa_uses_dynamic_stack 0
		.amdhsa_system_sgpr_private_segment_wavefront_offset 0
		.amdhsa_system_sgpr_workgroup_id_x 1
		.amdhsa_system_sgpr_workgroup_id_y 1
		.amdhsa_system_sgpr_workgroup_id_z 0
		.amdhsa_system_sgpr_workgroup_info 0
		.amdhsa_system_vgpr_workitem_id 1
		.amdhsa_next_free_vgpr 16
		.amdhsa_next_free_sgpr 18
		.amdhsa_accum_offset 16
		.amdhsa_reserve_vcc 1
		.amdhsa_reserve_flat_scratch 0
		.amdhsa_float_round_mode_32 0
		.amdhsa_float_round_mode_16_64 0
		.amdhsa_float_denorm_mode_32 3
		.amdhsa_float_denorm_mode_16_64 3
		.amdhsa_dx10_clamp 1
		.amdhsa_ieee_mode 1
		.amdhsa_fp16_overflow 0
		.amdhsa_tg_split 0
		.amdhsa_exception_fp_ieee_invalid_op 0
		.amdhsa_exception_fp_denorm_src 0
		.amdhsa_exception_fp_ieee_div_zero 0
		.amdhsa_exception_fp_ieee_overflow 0
		.amdhsa_exception_fp_ieee_underflow 0
		.amdhsa_exception_fp_ieee_inexact 0
		.amdhsa_exception_int_div_zero 0
	.end_amdhsa_kernel
	.section	.text._ZN2ck17naive_gemm_kernelINS_13tensor_layout4gemm11ColumnMajorENS2_8RowMajorES4_aaaiNS_16tensor_operation12element_wise11PassThroughES7_S7_aaEEvPKT2_PKT3_PT4_iiiT6_T7_T8_,"axG",@progbits,_ZN2ck17naive_gemm_kernelINS_13tensor_layout4gemm11ColumnMajorENS2_8RowMajorES4_aaaiNS_16tensor_operation12element_wise11PassThroughES7_S7_aaEEvPKT2_PKT3_PT4_iiiT6_T7_T8_,comdat
.Lfunc_end6:
	.size	_ZN2ck17naive_gemm_kernelINS_13tensor_layout4gemm11ColumnMajorENS2_8RowMajorES4_aaaiNS_16tensor_operation12element_wise11PassThroughES7_S7_aaEEvPKT2_PKT3_PT4_iiiT6_T7_T8_, .Lfunc_end6-_ZN2ck17naive_gemm_kernelINS_13tensor_layout4gemm11ColumnMajorENS2_8RowMajorES4_aaaiNS_16tensor_operation12element_wise11PassThroughES7_S7_aaEEvPKT2_PKT3_PT4_iiiT6_T7_T8_
                                        ; -- End function
	.section	.AMDGPU.csdata,"",@progbits
; Kernel info:
; codeLenInByte = 620
; NumSgprs: 22
; NumVgprs: 16
; NumAgprs: 0
; TotalNumVgprs: 16
; ScratchSize: 0
; MemoryBound: 0
; FloatMode: 240
; IeeeMode: 1
; LDSByteSize: 0 bytes/workgroup (compile time only)
; SGPRBlocks: 2
; VGPRBlocks: 1
; NumSGPRsForWavesPerEU: 22
; NumVGPRsForWavesPerEU: 16
; AccumOffset: 16
; Occupancy: 8
; WaveLimiterHint : 0
; COMPUTE_PGM_RSRC2:SCRATCH_EN: 0
; COMPUTE_PGM_RSRC2:USER_SGPR: 6
; COMPUTE_PGM_RSRC2:TRAP_HANDLER: 0
; COMPUTE_PGM_RSRC2:TGID_X_EN: 1
; COMPUTE_PGM_RSRC2:TGID_Y_EN: 1
; COMPUTE_PGM_RSRC2:TGID_Z_EN: 0
; COMPUTE_PGM_RSRC2:TIDIG_COMP_CNT: 1
; COMPUTE_PGM_RSRC3_GFX90A:ACCUM_OFFSET: 3
; COMPUTE_PGM_RSRC3_GFX90A:TG_SPLIT: 0
	.text
	.p2alignl 6, 3212836864
	.fill 256, 4, 3212836864
	.type	__hip_cuid_6d746ba51777a949,@object ; @__hip_cuid_6d746ba51777a949
	.section	.bss,"aw",@nobits
	.globl	__hip_cuid_6d746ba51777a949
__hip_cuid_6d746ba51777a949:
	.byte	0                               ; 0x0
	.size	__hip_cuid_6d746ba51777a949, 1

	.ident	"AMD clang version 19.0.0git (https://github.com/RadeonOpenCompute/llvm-project roc-6.4.0 25133 c7fe45cf4b819c5991fe208aaa96edf142730f1d)"
	.section	".note.GNU-stack","",@progbits
	.addrsig
	.addrsig_sym __hip_cuid_6d746ba51777a949
	.amdgpu_metadata
---
amdhsa.kernels:
  - .agpr_count:     0
    .args:           []
    .group_segment_fixed_size: 0
    .kernarg_segment_align: 4
    .kernarg_segment_size: 0
    .language:       OpenCL C
    .language_version:
      - 2
      - 0
    .max_flat_workgroup_size: 1024
    .name:           _ZN2ckL12flush_icacheEv
    .private_segment_fixed_size: 0
    .sgpr_count:     4
    .sgpr_spill_count: 0
    .symbol:         _ZN2ckL12flush_icacheEv.kd
    .uniform_work_group_size: 1
    .uses_dynamic_stack: false
    .vgpr_count:     0
    .vgpr_spill_count: 0
    .wavefront_size: 64
  - .agpr_count:     0
    .args:
      - .address_space:  global
        .offset:         0
        .size:           8
        .value_kind:     global_buffer
      - .address_space:  global
        .offset:         8
        .size:           8
        .value_kind:     global_buffer
      - .address_space:  global
        .offset:         16
        .size:           8
        .value_kind:     global_buffer
      - .offset:         24
        .size:           64
        .value_kind:     by_value
      - .offset:         88
        .size:           64
        .value_kind:     by_value
      - .offset:         152
        .size:           64
        .value_kind:     by_value
      - .offset:         216
        .size:           112
        .value_kind:     by_value
    .group_segment_fixed_size: 32768
    .kernarg_segment_align: 8
    .kernarg_segment_size: 328
    .language:       OpenCL C
    .language_version:
      - 2
      - 0
    .max_flat_workgroup_size: 256
    .name:           _ZN2ck19kernel_gemm_dl_v1r3INS_28GridwiseGemmDl_km_kn_mn_v1r3ILi256EaiaLNS_25InMemoryDataOperationEnumE0ENS_16TensorDescriptorINS_5TupleIJNS_5EmbedINS4_IJiiEEENS4_IJNS_17integral_constantIiLi1EEEiEEELb0EEENS_7UnMergeINS4_IJiNS7_IiLi4EEEEEELb0EEENS_11PassThroughIiEEEEENS4_IJNS_8SequenceIJLi0EEEENSI_IJLi2EEEENSI_IJLi1EEEEEEENS4_IJNSI_IJLi1ELi2EEEENSI_IJLi3ELi4EEEENSI_IJLi5EEEEEEENSI_IJLi3ELi5ELi4EEEElEENS3_INS4_IJNS5_IS6_NS4_IJiS8_EEELb0EEESE_SG_EEENS4_IJSJ_SL_SK_EEESQ_SR_lEENS3_INS4_IJSU_SG_SG_EEESW_NS4_IJSN_NSI_IJLi3EEEENSI_IJLi4EEEEEEESO_lEELi128ELi128ELi16ELi4ELi4ELi4ELi1ENSI_IJLi8ELi2EEEES13_NSI_IJLi2ELi1ELi4ELi4EEEENSI_IJLi8ELi1ELi32ELi1EEEENSI_IJLi0ELi3ELi1ELi2EEEES16_NSI_IJLi1ELi1ELi4ELi1EEEES16_NSI_IJLi1ELi1ELi4ELi4EEEES14_S15_S16_S16_S17_S16_S18_NSI_IJLi0ELi1ELi2ELi3ELi4ELi5EEEELi5ELi4EEEaaNS3_INS4_IJSA_SE_SG_SG_NSB_INS4_IJiNS7_IiLi128EEEEEELb0EEENSF_ISC_EEEEENS4_IJSJ_SK_SL_SZ_SP_S10_EEENS4_IJSN_SO_SP_NSI_IJLi6EEEENSI_IJLi7ELi8EEEENSI_IJLi9EEEEEEENSI_IJLi6ELi7ELi8ELi9EEEElEENS3_INS4_IJSU_SE_SG_SG_S1D_S1E_EEENS4_IJSJ_SL_SK_SZ_SP_S10_EEES1K_S1L_lEENS3_INS4_IJSU_SG_SG_NSB_INS4_IJiNS7_IiLi2EEENS7_IiLi64EEEEEELb0EEES1T_EEENS4_IJSJ_SL_SK_SZ_S10_EEENS4_IJSN_SZ_S10_NSI_IJLi5ELi6ELi7EEEENSI_IJLi8ELi9ELi10EEEEEEENSI_IJLi5ELi6ELi7ELi8ELi9ELi10EEEElEENS_31BlockToCTileMap_M00_N00_M01_N01ILi128ELi128ES12_Lb0EEELb1ELb1EEEvPKT0_S25_PT1_T2_T3_T4_T5_
    .private_segment_fixed_size: 480
    .sgpr_count:     56
    .sgpr_spill_count: 0
    .symbol:         _ZN2ck19kernel_gemm_dl_v1r3INS_28GridwiseGemmDl_km_kn_mn_v1r3ILi256EaiaLNS_25InMemoryDataOperationEnumE0ENS_16TensorDescriptorINS_5TupleIJNS_5EmbedINS4_IJiiEEENS4_IJNS_17integral_constantIiLi1EEEiEEELb0EEENS_7UnMergeINS4_IJiNS7_IiLi4EEEEEELb0EEENS_11PassThroughIiEEEEENS4_IJNS_8SequenceIJLi0EEEENSI_IJLi2EEEENSI_IJLi1EEEEEEENS4_IJNSI_IJLi1ELi2EEEENSI_IJLi3ELi4EEEENSI_IJLi5EEEEEEENSI_IJLi3ELi5ELi4EEEElEENS3_INS4_IJNS5_IS6_NS4_IJiS8_EEELb0EEESE_SG_EEENS4_IJSJ_SL_SK_EEESQ_SR_lEENS3_INS4_IJSU_SG_SG_EEESW_NS4_IJSN_NSI_IJLi3EEEENSI_IJLi4EEEEEEESO_lEELi128ELi128ELi16ELi4ELi4ELi4ELi1ENSI_IJLi8ELi2EEEES13_NSI_IJLi2ELi1ELi4ELi4EEEENSI_IJLi8ELi1ELi32ELi1EEEENSI_IJLi0ELi3ELi1ELi2EEEES16_NSI_IJLi1ELi1ELi4ELi1EEEES16_NSI_IJLi1ELi1ELi4ELi4EEEES14_S15_S16_S16_S17_S16_S18_NSI_IJLi0ELi1ELi2ELi3ELi4ELi5EEEELi5ELi4EEEaaNS3_INS4_IJSA_SE_SG_SG_NSB_INS4_IJiNS7_IiLi128EEEEEELb0EEENSF_ISC_EEEEENS4_IJSJ_SK_SL_SZ_SP_S10_EEENS4_IJSN_SO_SP_NSI_IJLi6EEEENSI_IJLi7ELi8EEEENSI_IJLi9EEEEEEENSI_IJLi6ELi7ELi8ELi9EEEElEENS3_INS4_IJSU_SE_SG_SG_S1D_S1E_EEENS4_IJSJ_SL_SK_SZ_SP_S10_EEES1K_S1L_lEENS3_INS4_IJSU_SG_SG_NSB_INS4_IJiNS7_IiLi2EEENS7_IiLi64EEEEEELb0EEES1T_EEENS4_IJSJ_SL_SK_SZ_S10_EEENS4_IJSN_SZ_S10_NSI_IJLi5ELi6ELi7EEEENSI_IJLi8ELi9ELi10EEEEEEENSI_IJLi5ELi6ELi7ELi8ELi9ELi10EEEElEENS_31BlockToCTileMap_M00_N00_M01_N01ILi128ELi128ES12_Lb0EEELb1ELb1EEEvPKT0_S25_PT1_T2_T3_T4_T5_.kd
    .uniform_work_group_size: 1
    .uses_dynamic_stack: false
    .vgpr_count:     141
    .vgpr_spill_count: 0
    .wavefront_size: 64
  - .agpr_count:     0
    .args:
      - .address_space:  global
        .offset:         0
        .size:           8
        .value_kind:     global_buffer
      - .address_space:  global
        .offset:         8
        .size:           8
        .value_kind:     global_buffer
      - .address_space:  global
        .offset:         16
        .size:           8
        .value_kind:     global_buffer
      - .offset:         24
        .size:           64
        .value_kind:     by_value
      - .offset:         88
        .size:           64
        .value_kind:     by_value
      - .offset:         152
        .size:           64
        .value_kind:     by_value
      - .offset:         216
        .size:           112
        .value_kind:     by_value
    .group_segment_fixed_size: 32768
    .kernarg_segment_align: 8
    .kernarg_segment_size: 328
    .language:       OpenCL C
    .language_version:
      - 2
      - 0
    .max_flat_workgroup_size: 256
    .name:           _ZN2ck19kernel_gemm_dl_v1r3INS_28GridwiseGemmDl_km_kn_mn_v1r3ILi256EaiaLNS_25InMemoryDataOperationEnumE0ENS_16TensorDescriptorINS_5TupleIJNS_5EmbedINS4_IJiiEEENS4_IJNS_17integral_constantIiLi1EEEiEEELb0EEENS_7UnMergeINS4_IJiNS7_IiLi4EEEEEELb0EEENS_11PassThroughIiEEEEENS4_IJNS_8SequenceIJLi0EEEENSI_IJLi2EEEENSI_IJLi1EEEEEEENS4_IJNSI_IJLi1ELi2EEEENSI_IJLi3ELi4EEEENSI_IJLi5EEEEEEENSI_IJLi3ELi5ELi4EEEElEENS3_INS4_IJNS5_IS6_NS4_IJiS8_EEELb0EEESE_SG_EEENS4_IJSJ_SL_SK_EEESQ_SR_lEENS3_INS4_IJSU_SG_SG_EEESW_NS4_IJSN_NSI_IJLi3EEEENSI_IJLi4EEEEEEESO_lEELi128ELi128ELi16ELi4ELi4ELi4ELi1ENSI_IJLi8ELi2EEEES13_NSI_IJLi2ELi1ELi4ELi4EEEENSI_IJLi8ELi1ELi32ELi1EEEENSI_IJLi0ELi3ELi1ELi2EEEES16_NSI_IJLi1ELi1ELi4ELi1EEEES16_NSI_IJLi1ELi1ELi4ELi4EEEES14_S15_S16_S16_S17_S16_S18_NSI_IJLi0ELi1ELi2ELi3ELi4ELi5EEEELi5ELi4EEEaaNS3_INS4_IJSA_SE_SG_SG_NSB_INS4_IJiNS7_IiLi128EEEEEELb0EEENSF_ISC_EEEEENS4_IJSJ_SK_SL_SZ_SP_S10_EEENS4_IJSN_SO_SP_NSI_IJLi6EEEENSI_IJLi7ELi8EEEENSI_IJLi9EEEEEEENSI_IJLi6ELi7ELi8ELi9EEEElEENS3_INS4_IJSU_SE_SG_SG_S1D_S1E_EEENS4_IJSJ_SL_SK_SZ_SP_S10_EEES1K_S1L_lEENS3_INS4_IJSU_SG_SG_NSB_INS4_IJiNS7_IiLi2EEENS7_IiLi64EEEEEELb0EEES1T_EEENS4_IJSJ_SL_SK_SZ_S10_EEENS4_IJSN_SZ_S10_NSI_IJLi5ELi6ELi7EEEENSI_IJLi8ELi9ELi10EEEEEEENSI_IJLi5ELi6ELi7ELi8ELi9ELi10EEEElEENS_31BlockToCTileMap_M00_N00_M01_N01ILi128ELi128ES12_Lb0EEELb1ELb0EEEvPKT0_S25_PT1_T2_T3_T4_T5_
    .private_segment_fixed_size: 480
    .sgpr_count:     53
    .sgpr_spill_count: 0
    .symbol:         _ZN2ck19kernel_gemm_dl_v1r3INS_28GridwiseGemmDl_km_kn_mn_v1r3ILi256EaiaLNS_25InMemoryDataOperationEnumE0ENS_16TensorDescriptorINS_5TupleIJNS_5EmbedINS4_IJiiEEENS4_IJNS_17integral_constantIiLi1EEEiEEELb0EEENS_7UnMergeINS4_IJiNS7_IiLi4EEEEEELb0EEENS_11PassThroughIiEEEEENS4_IJNS_8SequenceIJLi0EEEENSI_IJLi2EEEENSI_IJLi1EEEEEEENS4_IJNSI_IJLi1ELi2EEEENSI_IJLi3ELi4EEEENSI_IJLi5EEEEEEENSI_IJLi3ELi5ELi4EEEElEENS3_INS4_IJNS5_IS6_NS4_IJiS8_EEELb0EEESE_SG_EEENS4_IJSJ_SL_SK_EEESQ_SR_lEENS3_INS4_IJSU_SG_SG_EEESW_NS4_IJSN_NSI_IJLi3EEEENSI_IJLi4EEEEEEESO_lEELi128ELi128ELi16ELi4ELi4ELi4ELi1ENSI_IJLi8ELi2EEEES13_NSI_IJLi2ELi1ELi4ELi4EEEENSI_IJLi8ELi1ELi32ELi1EEEENSI_IJLi0ELi3ELi1ELi2EEEES16_NSI_IJLi1ELi1ELi4ELi1EEEES16_NSI_IJLi1ELi1ELi4ELi4EEEES14_S15_S16_S16_S17_S16_S18_NSI_IJLi0ELi1ELi2ELi3ELi4ELi5EEEELi5ELi4EEEaaNS3_INS4_IJSA_SE_SG_SG_NSB_INS4_IJiNS7_IiLi128EEEEEELb0EEENSF_ISC_EEEEENS4_IJSJ_SK_SL_SZ_SP_S10_EEENS4_IJSN_SO_SP_NSI_IJLi6EEEENSI_IJLi7ELi8EEEENSI_IJLi9EEEEEEENSI_IJLi6ELi7ELi8ELi9EEEElEENS3_INS4_IJSU_SE_SG_SG_S1D_S1E_EEENS4_IJSJ_SL_SK_SZ_SP_S10_EEES1K_S1L_lEENS3_INS4_IJSU_SG_SG_NSB_INS4_IJiNS7_IiLi2EEENS7_IiLi64EEEEEELb0EEES1T_EEENS4_IJSJ_SL_SK_SZ_S10_EEENS4_IJSN_SZ_S10_NSI_IJLi5ELi6ELi7EEEENSI_IJLi8ELi9ELi10EEEEEEENSI_IJLi5ELi6ELi7ELi8ELi9ELi10EEEElEENS_31BlockToCTileMap_M00_N00_M01_N01ILi128ELi128ES12_Lb0EEELb1ELb0EEEvPKT0_S25_PT1_T2_T3_T4_T5_.kd
    .uniform_work_group_size: 1
    .uses_dynamic_stack: false
    .vgpr_count:     133
    .vgpr_spill_count: 0
    .wavefront_size: 64
  - .agpr_count:     0
    .args:
      - .address_space:  global
        .offset:         0
        .size:           8
        .value_kind:     global_buffer
      - .address_space:  global
        .offset:         8
        .size:           8
        .value_kind:     global_buffer
      - .address_space:  global
        .offset:         16
        .size:           8
        .value_kind:     global_buffer
      - .offset:         24
        .size:           64
        .value_kind:     by_value
      - .offset:         88
        .size:           64
        .value_kind:     by_value
      - .offset:         152
        .size:           64
        .value_kind:     by_value
      - .offset:         216
        .size:           112
        .value_kind:     by_value
    .group_segment_fixed_size: 32768
    .kernarg_segment_align: 8
    .kernarg_segment_size: 328
    .language:       OpenCL C
    .language_version:
      - 2
      - 0
    .max_flat_workgroup_size: 256
    .name:           _ZN2ck19kernel_gemm_dl_v1r3INS_28GridwiseGemmDl_km_kn_mn_v1r3ILi256EaiaLNS_25InMemoryDataOperationEnumE0ENS_16TensorDescriptorINS_5TupleIJNS_5EmbedINS4_IJiiEEENS4_IJNS_17integral_constantIiLi1EEEiEEELb0EEENS_7UnMergeINS4_IJiNS7_IiLi4EEEEEELb0EEENS_11PassThroughIiEEEEENS4_IJNS_8SequenceIJLi0EEEENSI_IJLi2EEEENSI_IJLi1EEEEEEENS4_IJNSI_IJLi1ELi2EEEENSI_IJLi3ELi4EEEENSI_IJLi5EEEEEEENSI_IJLi3ELi5ELi4EEEElEENS3_INS4_IJNS5_IS6_NS4_IJiS8_EEELb0EEESE_SG_EEENS4_IJSJ_SL_SK_EEESQ_SR_lEENS3_INS4_IJSU_SG_SG_EEESW_NS4_IJSN_NSI_IJLi3EEEENSI_IJLi4EEEEEEESO_lEELi128ELi128ELi16ELi4ELi4ELi4ELi1ENSI_IJLi8ELi2EEEES13_NSI_IJLi2ELi1ELi4ELi4EEEENSI_IJLi8ELi1ELi32ELi1EEEENSI_IJLi0ELi3ELi1ELi2EEEES16_NSI_IJLi1ELi1ELi4ELi1EEEES16_NSI_IJLi1ELi1ELi4ELi4EEEES14_S15_S16_S16_S17_S16_S18_NSI_IJLi0ELi1ELi2ELi3ELi4ELi5EEEELi5ELi4EEEaaNS3_INS4_IJSA_SE_SG_SG_NSB_INS4_IJiNS7_IiLi128EEEEEELb0EEENSF_ISC_EEEEENS4_IJSJ_SK_SL_SZ_SP_S10_EEENS4_IJSN_SO_SP_NSI_IJLi6EEEENSI_IJLi7ELi8EEEENSI_IJLi9EEEEEEENSI_IJLi6ELi7ELi8ELi9EEEElEENS3_INS4_IJSU_SE_SG_SG_S1D_S1E_EEENS4_IJSJ_SL_SK_SZ_SP_S10_EEES1K_S1L_lEENS3_INS4_IJSU_SG_SG_NSB_INS4_IJiNS7_IiLi2EEENS7_IiLi64EEEEEELb0EEES1T_EEENS4_IJSJ_SL_SK_SZ_S10_EEENS4_IJSN_SZ_S10_NSI_IJLi5ELi6ELi7EEEENSI_IJLi8ELi9ELi10EEEEEEENSI_IJLi5ELi6ELi7ELi8ELi9ELi10EEEElEENS_31BlockToCTileMap_M00_N00_M01_N01ILi128ELi128ES12_Lb0EEELb0ELb1EEEvPKT0_S25_PT1_T2_T3_T4_T5_
    .private_segment_fixed_size: 480
    .sgpr_count:     50
    .sgpr_spill_count: 0
    .symbol:         _ZN2ck19kernel_gemm_dl_v1r3INS_28GridwiseGemmDl_km_kn_mn_v1r3ILi256EaiaLNS_25InMemoryDataOperationEnumE0ENS_16TensorDescriptorINS_5TupleIJNS_5EmbedINS4_IJiiEEENS4_IJNS_17integral_constantIiLi1EEEiEEELb0EEENS_7UnMergeINS4_IJiNS7_IiLi4EEEEEELb0EEENS_11PassThroughIiEEEEENS4_IJNS_8SequenceIJLi0EEEENSI_IJLi2EEEENSI_IJLi1EEEEEEENS4_IJNSI_IJLi1ELi2EEEENSI_IJLi3ELi4EEEENSI_IJLi5EEEEEEENSI_IJLi3ELi5ELi4EEEElEENS3_INS4_IJNS5_IS6_NS4_IJiS8_EEELb0EEESE_SG_EEENS4_IJSJ_SL_SK_EEESQ_SR_lEENS3_INS4_IJSU_SG_SG_EEESW_NS4_IJSN_NSI_IJLi3EEEENSI_IJLi4EEEEEEESO_lEELi128ELi128ELi16ELi4ELi4ELi4ELi1ENSI_IJLi8ELi2EEEES13_NSI_IJLi2ELi1ELi4ELi4EEEENSI_IJLi8ELi1ELi32ELi1EEEENSI_IJLi0ELi3ELi1ELi2EEEES16_NSI_IJLi1ELi1ELi4ELi1EEEES16_NSI_IJLi1ELi1ELi4ELi4EEEES14_S15_S16_S16_S17_S16_S18_NSI_IJLi0ELi1ELi2ELi3ELi4ELi5EEEELi5ELi4EEEaaNS3_INS4_IJSA_SE_SG_SG_NSB_INS4_IJiNS7_IiLi128EEEEEELb0EEENSF_ISC_EEEEENS4_IJSJ_SK_SL_SZ_SP_S10_EEENS4_IJSN_SO_SP_NSI_IJLi6EEEENSI_IJLi7ELi8EEEENSI_IJLi9EEEEEEENSI_IJLi6ELi7ELi8ELi9EEEElEENS3_INS4_IJSU_SE_SG_SG_S1D_S1E_EEENS4_IJSJ_SL_SK_SZ_SP_S10_EEES1K_S1L_lEENS3_INS4_IJSU_SG_SG_NSB_INS4_IJiNS7_IiLi2EEENS7_IiLi64EEEEEELb0EEES1T_EEENS4_IJSJ_SL_SK_SZ_S10_EEENS4_IJSN_SZ_S10_NSI_IJLi5ELi6ELi7EEEENSI_IJLi8ELi9ELi10EEEEEEENSI_IJLi5ELi6ELi7ELi8ELi9ELi10EEEElEENS_31BlockToCTileMap_M00_N00_M01_N01ILi128ELi128ES12_Lb0EEELb0ELb1EEEvPKT0_S25_PT1_T2_T3_T4_T5_.kd
    .uniform_work_group_size: 1
    .uses_dynamic_stack: false
    .vgpr_count:     92
    .vgpr_spill_count: 0
    .wavefront_size: 64
  - .agpr_count:     0
    .args:
      - .address_space:  global
        .offset:         0
        .size:           8
        .value_kind:     global_buffer
      - .address_space:  global
        .offset:         8
        .size:           8
        .value_kind:     global_buffer
      - .address_space:  global
        .offset:         16
        .size:           8
        .value_kind:     global_buffer
      - .offset:         24
        .size:           64
        .value_kind:     by_value
      - .offset:         88
        .size:           64
        .value_kind:     by_value
      - .offset:         152
        .size:           64
        .value_kind:     by_value
      - .offset:         216
        .size:           112
        .value_kind:     by_value
    .group_segment_fixed_size: 32768
    .kernarg_segment_align: 8
    .kernarg_segment_size: 328
    .language:       OpenCL C
    .language_version:
      - 2
      - 0
    .max_flat_workgroup_size: 256
    .name:           _ZN2ck19kernel_gemm_dl_v1r3INS_28GridwiseGemmDl_km_kn_mn_v1r3ILi256EaiaLNS_25InMemoryDataOperationEnumE0ENS_16TensorDescriptorINS_5TupleIJNS_5EmbedINS4_IJiiEEENS4_IJNS_17integral_constantIiLi1EEEiEEELb0EEENS_7UnMergeINS4_IJiNS7_IiLi4EEEEEELb0EEENS_11PassThroughIiEEEEENS4_IJNS_8SequenceIJLi0EEEENSI_IJLi2EEEENSI_IJLi1EEEEEEENS4_IJNSI_IJLi1ELi2EEEENSI_IJLi3ELi4EEEENSI_IJLi5EEEEEEENSI_IJLi3ELi5ELi4EEEElEENS3_INS4_IJNS5_IS6_NS4_IJiS8_EEELb0EEESE_SG_EEENS4_IJSJ_SL_SK_EEESQ_SR_lEENS3_INS4_IJSU_SG_SG_EEESW_NS4_IJSN_NSI_IJLi3EEEENSI_IJLi4EEEEEEESO_lEELi128ELi128ELi16ELi4ELi4ELi4ELi1ENSI_IJLi8ELi2EEEES13_NSI_IJLi2ELi1ELi4ELi4EEEENSI_IJLi8ELi1ELi32ELi1EEEENSI_IJLi0ELi3ELi1ELi2EEEES16_NSI_IJLi1ELi1ELi4ELi1EEEES16_NSI_IJLi1ELi1ELi4ELi4EEEES14_S15_S16_S16_S17_S16_S18_NSI_IJLi0ELi1ELi2ELi3ELi4ELi5EEEELi5ELi4EEEaaNS3_INS4_IJSA_SE_SG_SG_NSB_INS4_IJiNS7_IiLi128EEEEEELb0EEENSF_ISC_EEEEENS4_IJSJ_SK_SL_SZ_SP_S10_EEENS4_IJSN_SO_SP_NSI_IJLi6EEEENSI_IJLi7ELi8EEEENSI_IJLi9EEEEEEENSI_IJLi6ELi7ELi8ELi9EEEElEENS3_INS4_IJSU_SE_SG_SG_S1D_S1E_EEENS4_IJSJ_SL_SK_SZ_SP_S10_EEES1K_S1L_lEENS3_INS4_IJSU_SG_SG_NSB_INS4_IJiNS7_IiLi2EEENS7_IiLi64EEEEEELb0EEES1T_EEENS4_IJSJ_SL_SK_SZ_S10_EEENS4_IJSN_SZ_S10_NSI_IJLi5ELi6ELi7EEEENSI_IJLi8ELi9ELi10EEEEEEENSI_IJLi5ELi6ELi7ELi8ELi9ELi10EEEElEENS_31BlockToCTileMap_M00_N00_M01_N01ILi128ELi128ES12_Lb0EEELb0ELb0EEEvPKT0_S25_PT1_T2_T3_T4_T5_
    .private_segment_fixed_size: 448
    .sgpr_count:     46
    .sgpr_spill_count: 0
    .symbol:         _ZN2ck19kernel_gemm_dl_v1r3INS_28GridwiseGemmDl_km_kn_mn_v1r3ILi256EaiaLNS_25InMemoryDataOperationEnumE0ENS_16TensorDescriptorINS_5TupleIJNS_5EmbedINS4_IJiiEEENS4_IJNS_17integral_constantIiLi1EEEiEEELb0EEENS_7UnMergeINS4_IJiNS7_IiLi4EEEEEELb0EEENS_11PassThroughIiEEEEENS4_IJNS_8SequenceIJLi0EEEENSI_IJLi2EEEENSI_IJLi1EEEEEEENS4_IJNSI_IJLi1ELi2EEEENSI_IJLi3ELi4EEEENSI_IJLi5EEEEEEENSI_IJLi3ELi5ELi4EEEElEENS3_INS4_IJNS5_IS6_NS4_IJiS8_EEELb0EEESE_SG_EEENS4_IJSJ_SL_SK_EEESQ_SR_lEENS3_INS4_IJSU_SG_SG_EEESW_NS4_IJSN_NSI_IJLi3EEEENSI_IJLi4EEEEEEESO_lEELi128ELi128ELi16ELi4ELi4ELi4ELi1ENSI_IJLi8ELi2EEEES13_NSI_IJLi2ELi1ELi4ELi4EEEENSI_IJLi8ELi1ELi32ELi1EEEENSI_IJLi0ELi3ELi1ELi2EEEES16_NSI_IJLi1ELi1ELi4ELi1EEEES16_NSI_IJLi1ELi1ELi4ELi4EEEES14_S15_S16_S16_S17_S16_S18_NSI_IJLi0ELi1ELi2ELi3ELi4ELi5EEEELi5ELi4EEEaaNS3_INS4_IJSA_SE_SG_SG_NSB_INS4_IJiNS7_IiLi128EEEEEELb0EEENSF_ISC_EEEEENS4_IJSJ_SK_SL_SZ_SP_S10_EEENS4_IJSN_SO_SP_NSI_IJLi6EEEENSI_IJLi7ELi8EEEENSI_IJLi9EEEEEEENSI_IJLi6ELi7ELi8ELi9EEEElEENS3_INS4_IJSU_SE_SG_SG_S1D_S1E_EEENS4_IJSJ_SL_SK_SZ_SP_S10_EEES1K_S1L_lEENS3_INS4_IJSU_SG_SG_NSB_INS4_IJiNS7_IiLi2EEENS7_IiLi64EEEEEELb0EEES1T_EEENS4_IJSJ_SL_SK_SZ_S10_EEENS4_IJSN_SZ_S10_NSI_IJLi5ELi6ELi7EEEENSI_IJLi8ELi9ELi10EEEEEEENSI_IJLi5ELi6ELi7ELi8ELi9ELi10EEEElEENS_31BlockToCTileMap_M00_N00_M01_N01ILi128ELi128ES12_Lb0EEELb0ELb0EEEvPKT0_S25_PT1_T2_T3_T4_T5_.kd
    .uniform_work_group_size: 1
    .uses_dynamic_stack: false
    .vgpr_count:     50
    .vgpr_spill_count: 0
    .wavefront_size: 64
  - .agpr_count:     0
    .args:
      - .actual_access:  read_only
        .address_space:  global
        .offset:         0
        .size:           8
        .value_kind:     global_buffer
      - .actual_access:  read_only
        .address_space:  global
        .offset:         8
        .size:           8
        .value_kind:     global_buffer
      - .actual_access:  write_only
        .address_space:  global
        .offset:         16
        .size:           8
        .value_kind:     global_buffer
      - .offset:         24
        .size:           4
        .value_kind:     by_value
      - .offset:         28
        .size:           4
        .value_kind:     by_value
      - .offset:         32
        .size:           4
        .value_kind:     by_value
      - .offset:         36
        .size:           1
        .value_kind:     by_value
      - .offset:         37
        .size:           1
        .value_kind:     by_value
      - .offset:         38
        .size:           1
        .value_kind:     by_value
      - .offset:         40
        .size:           4
        .value_kind:     hidden_block_count_x
      - .offset:         44
        .size:           4
        .value_kind:     hidden_block_count_y
      - .offset:         48
        .size:           4
        .value_kind:     hidden_block_count_z
      - .offset:         52
        .size:           2
        .value_kind:     hidden_group_size_x
      - .offset:         54
        .size:           2
        .value_kind:     hidden_group_size_y
      - .offset:         56
        .size:           2
        .value_kind:     hidden_group_size_z
      - .offset:         58
        .size:           2
        .value_kind:     hidden_remainder_x
      - .offset:         60
        .size:           2
        .value_kind:     hidden_remainder_y
      - .offset:         62
        .size:           2
        .value_kind:     hidden_remainder_z
      - .offset:         80
        .size:           8
        .value_kind:     hidden_global_offset_x
      - .offset:         88
        .size:           8
        .value_kind:     hidden_global_offset_y
      - .offset:         96
        .size:           8
        .value_kind:     hidden_global_offset_z
      - .offset:         104
        .size:           2
        .value_kind:     hidden_grid_dims
    .group_segment_fixed_size: 0
    .kernarg_segment_align: 8
    .kernarg_segment_size: 296
    .language:       OpenCL C
    .language_version:
      - 2
      - 0
    .max_flat_workgroup_size: 256
    .name:           _ZN2ck17naive_gemm_kernelINS_13tensor_layout4gemm11ColumnMajorENS2_8RowMajorES4_aaaiNS_16tensor_operation12element_wise11PassThroughES7_S7_aaEEvPKT2_PKT3_PT4_iiiT6_T7_T8_
    .private_segment_fixed_size: 0
    .sgpr_count:     22
    .sgpr_spill_count: 0
    .symbol:         _ZN2ck17naive_gemm_kernelINS_13tensor_layout4gemm11ColumnMajorENS2_8RowMajorES4_aaaiNS_16tensor_operation12element_wise11PassThroughES7_S7_aaEEvPKT2_PKT3_PT4_iiiT6_T7_T8_.kd
    .uniform_work_group_size: 1
    .uses_dynamic_stack: false
    .vgpr_count:     16
    .vgpr_spill_count: 0
    .wavefront_size: 64
amdhsa.target:   amdgcn-amd-amdhsa--gfx90a
amdhsa.version:
  - 1
  - 2
...

	.end_amdgpu_metadata
